;; amdgpu-corpus repo=ROCm/rocSPARSE kind=compiled arch=gfx1030 opt=O3
	.amdgcn_target "amdgcn-amd-amdhsa--gfx1030"
	.amdhsa_code_object_version 6
	.section	.text._ZN9rocsparseL23gebsrmvn_general_kernelILj64ELj2EfEEvi20rocsparse_direction_NS_24const_host_device_scalarIT1_EEPKiS6_PKS3_iiS8_S4_PS3_21rocsparse_index_base_b,"axG",@progbits,_ZN9rocsparseL23gebsrmvn_general_kernelILj64ELj2EfEEvi20rocsparse_direction_NS_24const_host_device_scalarIT1_EEPKiS6_PKS3_iiS8_S4_PS3_21rocsparse_index_base_b,comdat
	.globl	_ZN9rocsparseL23gebsrmvn_general_kernelILj64ELj2EfEEvi20rocsparse_direction_NS_24const_host_device_scalarIT1_EEPKiS6_PKS3_iiS8_S4_PS3_21rocsparse_index_base_b ; -- Begin function _ZN9rocsparseL23gebsrmvn_general_kernelILj64ELj2EfEEvi20rocsparse_direction_NS_24const_host_device_scalarIT1_EEPKiS6_PKS3_iiS8_S4_PS3_21rocsparse_index_base_b
	.p2align	8
	.type	_ZN9rocsparseL23gebsrmvn_general_kernelILj64ELj2EfEEvi20rocsparse_direction_NS_24const_host_device_scalarIT1_EEPKiS6_PKS3_iiS8_S4_PS3_21rocsparse_index_base_b,@function
_ZN9rocsparseL23gebsrmvn_general_kernelILj64ELj2EfEEvi20rocsparse_direction_NS_24const_host_device_scalarIT1_EEPKiS6_PKS3_iiS8_S4_PS3_21rocsparse_index_base_b: ; @_ZN9rocsparseL23gebsrmvn_general_kernelILj64ELj2EfEEvi20rocsparse_direction_NS_24const_host_device_scalarIT1_EEPKiS6_PKS3_iiS8_S4_PS3_21rocsparse_index_base_b
; %bb.0:
	s_clause 0x2
	s_load_dwordx2 s[8:9], s[4:5], 0x48
	s_load_dwordx2 s[10:11], s[4:5], 0x8
	;; [unrolled: 1-line block ×3, first 2 shown]
	s_waitcnt lgkmcnt(0)
	s_bitcmp1_b32 s9, 0
	s_cselect_b32 s0, -1, 0
	s_and_b32 vcc_lo, exec_lo, s0
	s_xor_b32 s0, s0, -1
	s_cbranch_vccnz .LBB0_2
; %bb.1:
	s_load_dword s10, s[10:11], 0x0
.LBB0_2:
	s_andn2_b32 vcc_lo, exec_lo, s0
	s_cbranch_vccnz .LBB0_4
; %bb.3:
	s_load_dword s12, s[12:13], 0x0
.LBB0_4:
	s_waitcnt lgkmcnt(0)
	v_cmp_eq_f32_e64 s0, s10, 0
	v_cmp_eq_f32_e64 s1, s12, 1.0
	s_and_b32 s0, s0, s1
	s_and_b32 vcc_lo, exec_lo, s0
	s_cbranch_vccnz .LBB0_24
; %bb.5:
	s_load_dwordx2 s[14:15], s[4:5], 0x28
	v_lshrrev_b32_e32 v1, 1, v0
	s_mov_b32 s0, exec_lo
	s_waitcnt lgkmcnt(0)
	v_cmpx_gt_i32_e64 s14, v1
	s_cbranch_execz .LBB0_24
; %bb.6:
	s_load_dwordx4 s[0:3], s[4:5], 0x10
	s_ashr_i32 s7, s6, 31
	v_mbcnt_lo_u32_b32 v4, -1, 0
	s_lshl_b64 s[16:17], s[6:7], 2
	s_load_dword s7, s[4:5], 0x4
	v_and_b32_e32 v0, 1, v0
	v_cmp_eq_f32_e64 s22, s12, 0
	v_xor_b32_e32 v5, 1, v4
	s_mov_b32 s20, 0
	s_mul_i32 s23, s14, s6
	s_mul_i32 s25, s15, s14
	v_cmp_gt_i32_e32 vcc_lo, 32, v5
	s_waitcnt lgkmcnt(0)
	s_add_u32 s0, s0, s16
	s_addc_u32 s1, s1, s17
	s_load_dwordx2 s[0:1], s[0:1], 0x0
	s_clause 0x2
	s_load_dwordx2 s[16:17], s[4:5], 0x20
	s_load_dwordx2 s[18:19], s[4:5], 0x30
	;; [unrolled: 1-line block ×3, first 2 shown]
	s_waitcnt lgkmcnt(0)
	s_sub_i32 s9, s0, s8
	s_sub_i32 s11, s1, s8
	v_mad_u64_u32 v[2:3], null, s14, s9, v[1:2]
	v_cndmask_b32_e32 v3, v4, v5, vcc_lo
	s_cmp_lt_i32 s0, s1
	v_cmp_gt_i32_e64 s0, s15, v0
	v_cmp_eq_u32_e64 s1, 1, v0
	s_cselect_b32 s13, -1, 0
	v_lshlrev_b32_e32 v4, 2, v3
	v_mul_lo_u32 v5, s15, v2
	s_cmp_lg_u32 s7, 0
	s_cselect_b32 s21, -1, 0
	s_lshl_b32 s24, s15, 5
	s_branch .LBB0_8
.LBB0_7:                                ;   in Loop: Header=BB0_8 Depth=1
	s_or_b32 exec_lo, exec_lo, s6
	v_add_nc_u32_e32 v1, 32, v1
	v_add_nc_u32_e32 v5, s24, v5
	v_cmp_le_i32_e32 vcc_lo, s14, v1
	s_or_b32 s20, vcc_lo, s20
	s_andn2_b32 exec_lo, exec_lo, s20
	s_cbranch_execz .LBB0_24
.LBB0_8:                                ; =>This Loop Header: Depth=1
                                        ;     Child Loop BB0_12 Depth 2
                                        ;       Child Loop BB0_15 Depth 3
	v_mov_b32_e32 v6, 0
	s_andn2_b32 vcc_lo, exec_lo, s13
	s_cbranch_vccnz .LBB0_19
; %bb.9:                                ;   in Loop: Header=BB0_8 Depth=1
	v_mov_b32_e32 v6, 0
	v_mov_b32_e32 v7, v5
	s_mov_b32 s6, s9
	s_branch .LBB0_12
.LBB0_10:                               ;   in Loop: Header=BB0_12 Depth=2
	s_inst_prefetch 0x2
	s_or_b32 exec_lo, exec_lo, s27
.LBB0_11:                               ;   in Loop: Header=BB0_12 Depth=2
	s_or_b32 exec_lo, exec_lo, s26
	v_add_nc_u32_e32 v7, s25, v7
	s_add_i32 s6, s6, 1
	s_cmp_ge_i32 s6, s11
	s_cbranch_scc1 .LBB0_19
.LBB0_12:                               ;   Parent Loop BB0_8 Depth=1
                                        ; =>  This Loop Header: Depth=2
                                        ;       Child Loop BB0_15 Depth 3
	s_and_saveexec_b32 s26, s0
	s_cbranch_execz .LBB0_11
; %bb.13:                               ;   in Loop: Header=BB0_12 Depth=2
	s_ashr_i32 s7, s6, 31
	v_mov_b32_e32 v8, v0
	s_lshl_b64 s[28:29], s[6:7], 2
	s_mov_b32 s27, 0
	s_add_u32 s28, s2, s28
	s_addc_u32 s29, s3, s29
	s_load_dword s7, s[28:29], 0x0
	s_waitcnt lgkmcnt(0)
	s_sub_i32 s28, s7, s8
	s_mul_i32 s7, s6, s15
	s_mul_i32 s28, s28, s15
	s_inst_prefetch 0x1
	s_branch .LBB0_15
	.p2align	6
.LBB0_14:                               ;   in Loop: Header=BB0_15 Depth=3
	v_add_nc_u32_e32 v9, s28, v8
	v_ashrrev_i32_e32 v3, 31, v2
	v_add_nc_u32_e32 v8, 2, v8
	v_ashrrev_i32_e32 v10, 31, v9
	v_lshlrev_b64 v[2:3], 2, v[2:3]
	v_lshlrev_b64 v[9:10], 2, v[9:10]
	v_add_co_u32 v2, vcc_lo, s16, v2
	v_add_co_ci_u32_e64 v3, null, s17, v3, vcc_lo
	v_add_co_u32 v9, vcc_lo, s18, v9
	v_add_co_ci_u32_e64 v10, null, s19, v10, vcc_lo
	v_cmp_le_i32_e32 vcc_lo, s15, v8
	global_load_dword v2, v[2:3], off
	global_load_dword v3, v[9:10], off
	s_or_b32 s27, vcc_lo, s27
	s_waitcnt vmcnt(0)
	v_fmac_f32_e32 v6, v2, v3
	s_andn2_b32 exec_lo, exec_lo, s27
	s_cbranch_execz .LBB0_10
.LBB0_15:                               ;   Parent Loop BB0_8 Depth=1
                                        ;     Parent Loop BB0_12 Depth=2
                                        ; =>    This Inner Loop Header: Depth=3
	s_and_b32 vcc_lo, exec_lo, s21
	s_cbranch_vccz .LBB0_17
; %bb.16:                               ;   in Loop: Header=BB0_15 Depth=3
	v_add_nc_u32_e32 v2, s7, v8
	v_mad_u64_u32 v[2:3], null, v2, s14, v[1:2]
	s_cbranch_execnz .LBB0_14
	s_branch .LBB0_18
	.p2align	6
.LBB0_17:                               ;   in Loop: Header=BB0_15 Depth=3
                                        ; implicit-def: $vgpr2
.LBB0_18:                               ;   in Loop: Header=BB0_15 Depth=3
	v_add_nc_u32_e32 v2, v7, v8
	s_branch .LBB0_14
.LBB0_19:                               ;   in Loop: Header=BB0_8 Depth=1
	s_waitcnt lgkmcnt(0)
	ds_bpermute_b32 v2, v4, v6
	s_and_saveexec_b32 s6, s1
	s_cbranch_execz .LBB0_7
; %bb.20:                               ;   in Loop: Header=BB0_8 Depth=1
	s_waitcnt lgkmcnt(0)
	v_add_f32_e32 v3, v6, v2
	v_add_nc_u32_e32 v2, s23, v1
	s_and_b32 vcc_lo, exec_lo, s22
	v_mul_f32_e32 v6, s10, v3
	v_ashrrev_i32_e32 v3, 31, v2
	s_cbranch_vccz .LBB0_22
; %bb.21:                               ;   in Loop: Header=BB0_8 Depth=1
	v_lshlrev_b64 v[7:8], 2, v[2:3]
	v_add_co_u32 v7, vcc_lo, s4, v7
	v_add_co_ci_u32_e64 v8, null, s5, v8, vcc_lo
	global_store_dword v[7:8], v6, off
	s_cbranch_execnz .LBB0_7
	s_branch .LBB0_23
.LBB0_22:                               ;   in Loop: Header=BB0_8 Depth=1
.LBB0_23:                               ;   in Loop: Header=BB0_8 Depth=1
	v_lshlrev_b64 v[2:3], 2, v[2:3]
	v_add_co_u32 v2, vcc_lo, s4, v2
	v_add_co_ci_u32_e64 v3, null, s5, v3, vcc_lo
	global_load_dword v7, v[2:3], off
	s_waitcnt vmcnt(0)
	v_fmac_f32_e32 v6, s12, v7
	global_store_dword v[2:3], v6, off
	s_branch .LBB0_7
.LBB0_24:
	s_endpgm
	.section	.rodata,"a",@progbits
	.p2align	6, 0x0
	.amdhsa_kernel _ZN9rocsparseL23gebsrmvn_general_kernelILj64ELj2EfEEvi20rocsparse_direction_NS_24const_host_device_scalarIT1_EEPKiS6_PKS3_iiS8_S4_PS3_21rocsparse_index_base_b
		.amdhsa_group_segment_fixed_size 0
		.amdhsa_private_segment_fixed_size 0
		.amdhsa_kernarg_size 80
		.amdhsa_user_sgpr_count 6
		.amdhsa_user_sgpr_private_segment_buffer 1
		.amdhsa_user_sgpr_dispatch_ptr 0
		.amdhsa_user_sgpr_queue_ptr 0
		.amdhsa_user_sgpr_kernarg_segment_ptr 1
		.amdhsa_user_sgpr_dispatch_id 0
		.amdhsa_user_sgpr_flat_scratch_init 0
		.amdhsa_user_sgpr_private_segment_size 0
		.amdhsa_wavefront_size32 1
		.amdhsa_uses_dynamic_stack 0
		.amdhsa_system_sgpr_private_segment_wavefront_offset 0
		.amdhsa_system_sgpr_workgroup_id_x 1
		.amdhsa_system_sgpr_workgroup_id_y 0
		.amdhsa_system_sgpr_workgroup_id_z 0
		.amdhsa_system_sgpr_workgroup_info 0
		.amdhsa_system_vgpr_workitem_id 0
		.amdhsa_next_free_vgpr 11
		.amdhsa_next_free_sgpr 30
		.amdhsa_reserve_vcc 1
		.amdhsa_reserve_flat_scratch 0
		.amdhsa_float_round_mode_32 0
		.amdhsa_float_round_mode_16_64 0
		.amdhsa_float_denorm_mode_32 3
		.amdhsa_float_denorm_mode_16_64 3
		.amdhsa_dx10_clamp 1
		.amdhsa_ieee_mode 1
		.amdhsa_fp16_overflow 0
		.amdhsa_workgroup_processor_mode 1
		.amdhsa_memory_ordered 1
		.amdhsa_forward_progress 1
		.amdhsa_shared_vgpr_count 0
		.amdhsa_exception_fp_ieee_invalid_op 0
		.amdhsa_exception_fp_denorm_src 0
		.amdhsa_exception_fp_ieee_div_zero 0
		.amdhsa_exception_fp_ieee_overflow 0
		.amdhsa_exception_fp_ieee_underflow 0
		.amdhsa_exception_fp_ieee_inexact 0
		.amdhsa_exception_int_div_zero 0
	.end_amdhsa_kernel
	.section	.text._ZN9rocsparseL23gebsrmvn_general_kernelILj64ELj2EfEEvi20rocsparse_direction_NS_24const_host_device_scalarIT1_EEPKiS6_PKS3_iiS8_S4_PS3_21rocsparse_index_base_b,"axG",@progbits,_ZN9rocsparseL23gebsrmvn_general_kernelILj64ELj2EfEEvi20rocsparse_direction_NS_24const_host_device_scalarIT1_EEPKiS6_PKS3_iiS8_S4_PS3_21rocsparse_index_base_b,comdat
.Lfunc_end0:
	.size	_ZN9rocsparseL23gebsrmvn_general_kernelILj64ELj2EfEEvi20rocsparse_direction_NS_24const_host_device_scalarIT1_EEPKiS6_PKS3_iiS8_S4_PS3_21rocsparse_index_base_b, .Lfunc_end0-_ZN9rocsparseL23gebsrmvn_general_kernelILj64ELj2EfEEvi20rocsparse_direction_NS_24const_host_device_scalarIT1_EEPKiS6_PKS3_iiS8_S4_PS3_21rocsparse_index_base_b
                                        ; -- End function
	.set _ZN9rocsparseL23gebsrmvn_general_kernelILj64ELj2EfEEvi20rocsparse_direction_NS_24const_host_device_scalarIT1_EEPKiS6_PKS3_iiS8_S4_PS3_21rocsparse_index_base_b.num_vgpr, 11
	.set _ZN9rocsparseL23gebsrmvn_general_kernelILj64ELj2EfEEvi20rocsparse_direction_NS_24const_host_device_scalarIT1_EEPKiS6_PKS3_iiS8_S4_PS3_21rocsparse_index_base_b.num_agpr, 0
	.set _ZN9rocsparseL23gebsrmvn_general_kernelILj64ELj2EfEEvi20rocsparse_direction_NS_24const_host_device_scalarIT1_EEPKiS6_PKS3_iiS8_S4_PS3_21rocsparse_index_base_b.numbered_sgpr, 30
	.set _ZN9rocsparseL23gebsrmvn_general_kernelILj64ELj2EfEEvi20rocsparse_direction_NS_24const_host_device_scalarIT1_EEPKiS6_PKS3_iiS8_S4_PS3_21rocsparse_index_base_b.num_named_barrier, 0
	.set _ZN9rocsparseL23gebsrmvn_general_kernelILj64ELj2EfEEvi20rocsparse_direction_NS_24const_host_device_scalarIT1_EEPKiS6_PKS3_iiS8_S4_PS3_21rocsparse_index_base_b.private_seg_size, 0
	.set _ZN9rocsparseL23gebsrmvn_general_kernelILj64ELj2EfEEvi20rocsparse_direction_NS_24const_host_device_scalarIT1_EEPKiS6_PKS3_iiS8_S4_PS3_21rocsparse_index_base_b.uses_vcc, 1
	.set _ZN9rocsparseL23gebsrmvn_general_kernelILj64ELj2EfEEvi20rocsparse_direction_NS_24const_host_device_scalarIT1_EEPKiS6_PKS3_iiS8_S4_PS3_21rocsparse_index_base_b.uses_flat_scratch, 0
	.set _ZN9rocsparseL23gebsrmvn_general_kernelILj64ELj2EfEEvi20rocsparse_direction_NS_24const_host_device_scalarIT1_EEPKiS6_PKS3_iiS8_S4_PS3_21rocsparse_index_base_b.has_dyn_sized_stack, 0
	.set _ZN9rocsparseL23gebsrmvn_general_kernelILj64ELj2EfEEvi20rocsparse_direction_NS_24const_host_device_scalarIT1_EEPKiS6_PKS3_iiS8_S4_PS3_21rocsparse_index_base_b.has_recursion, 0
	.set _ZN9rocsparseL23gebsrmvn_general_kernelILj64ELj2EfEEvi20rocsparse_direction_NS_24const_host_device_scalarIT1_EEPKiS6_PKS3_iiS8_S4_PS3_21rocsparse_index_base_b.has_indirect_call, 0
	.section	.AMDGPU.csdata,"",@progbits
; Kernel info:
; codeLenInByte = 856
; TotalNumSgprs: 32
; NumVgprs: 11
; ScratchSize: 0
; MemoryBound: 0
; FloatMode: 240
; IeeeMode: 1
; LDSByteSize: 0 bytes/workgroup (compile time only)
; SGPRBlocks: 0
; VGPRBlocks: 1
; NumSGPRsForWavesPerEU: 32
; NumVGPRsForWavesPerEU: 11
; Occupancy: 16
; WaveLimiterHint : 1
; COMPUTE_PGM_RSRC2:SCRATCH_EN: 0
; COMPUTE_PGM_RSRC2:USER_SGPR: 6
; COMPUTE_PGM_RSRC2:TRAP_HANDLER: 0
; COMPUTE_PGM_RSRC2:TGID_X_EN: 1
; COMPUTE_PGM_RSRC2:TGID_Y_EN: 0
; COMPUTE_PGM_RSRC2:TGID_Z_EN: 0
; COMPUTE_PGM_RSRC2:TIDIG_COMP_CNT: 0
	.section	.text._ZN9rocsparseL23gebsrmvn_general_kernelILj128ELj4EfEEvi20rocsparse_direction_NS_24const_host_device_scalarIT1_EEPKiS6_PKS3_iiS8_S4_PS3_21rocsparse_index_base_b,"axG",@progbits,_ZN9rocsparseL23gebsrmvn_general_kernelILj128ELj4EfEEvi20rocsparse_direction_NS_24const_host_device_scalarIT1_EEPKiS6_PKS3_iiS8_S4_PS3_21rocsparse_index_base_b,comdat
	.globl	_ZN9rocsparseL23gebsrmvn_general_kernelILj128ELj4EfEEvi20rocsparse_direction_NS_24const_host_device_scalarIT1_EEPKiS6_PKS3_iiS8_S4_PS3_21rocsparse_index_base_b ; -- Begin function _ZN9rocsparseL23gebsrmvn_general_kernelILj128ELj4EfEEvi20rocsparse_direction_NS_24const_host_device_scalarIT1_EEPKiS6_PKS3_iiS8_S4_PS3_21rocsparse_index_base_b
	.p2align	8
	.type	_ZN9rocsparseL23gebsrmvn_general_kernelILj128ELj4EfEEvi20rocsparse_direction_NS_24const_host_device_scalarIT1_EEPKiS6_PKS3_iiS8_S4_PS3_21rocsparse_index_base_b,@function
_ZN9rocsparseL23gebsrmvn_general_kernelILj128ELj4EfEEvi20rocsparse_direction_NS_24const_host_device_scalarIT1_EEPKiS6_PKS3_iiS8_S4_PS3_21rocsparse_index_base_b: ; @_ZN9rocsparseL23gebsrmvn_general_kernelILj128ELj4EfEEvi20rocsparse_direction_NS_24const_host_device_scalarIT1_EEPKiS6_PKS3_iiS8_S4_PS3_21rocsparse_index_base_b
; %bb.0:
	s_clause 0x2
	s_load_dwordx2 s[8:9], s[4:5], 0x48
	s_load_dwordx2 s[10:11], s[4:5], 0x8
	;; [unrolled: 1-line block ×3, first 2 shown]
	s_waitcnt lgkmcnt(0)
	s_bitcmp1_b32 s9, 0
	s_cselect_b32 s0, -1, 0
	s_and_b32 vcc_lo, exec_lo, s0
	s_xor_b32 s0, s0, -1
	s_cbranch_vccnz .LBB1_2
; %bb.1:
	s_load_dword s10, s[10:11], 0x0
.LBB1_2:
	s_andn2_b32 vcc_lo, exec_lo, s0
	s_cbranch_vccnz .LBB1_4
; %bb.3:
	s_load_dword s12, s[12:13], 0x0
.LBB1_4:
	s_waitcnt lgkmcnt(0)
	v_cmp_eq_f32_e64 s0, s10, 0
	v_cmp_eq_f32_e64 s1, s12, 1.0
	s_and_b32 s0, s0, s1
	s_and_b32 vcc_lo, exec_lo, s0
	s_cbranch_vccnz .LBB1_24
; %bb.5:
	s_load_dwordx2 s[14:15], s[4:5], 0x28
	v_lshrrev_b32_e32 v1, 2, v0
	s_mov_b32 s0, exec_lo
	s_waitcnt lgkmcnt(0)
	v_cmpx_gt_i32_e64 s14, v1
	s_cbranch_execz .LBB1_24
; %bb.6:
	s_load_dwordx4 s[0:3], s[4:5], 0x10
	s_ashr_i32 s7, s6, 31
	v_mbcnt_lo_u32_b32 v4, -1, 0
	s_lshl_b64 s[16:17], s[6:7], 2
	s_load_dword s7, s[4:5], 0x4
	v_and_b32_e32 v0, 3, v0
	v_cmp_eq_f32_e64 s22, s12, 0
	v_xor_b32_e32 v2, 2, v4
	v_xor_b32_e32 v5, 1, v4
	s_mul_i32 s23, s14, s6
	s_mul_i32 s25, s15, s14
	v_cmp_gt_i32_e32 vcc_lo, 32, v2
	v_cndmask_b32_e32 v6, v4, v2, vcc_lo
	v_cmp_gt_i32_e32 vcc_lo, 32, v5
	s_waitcnt lgkmcnt(0)
	s_add_u32 s0, s0, s16
	s_addc_u32 s1, s1, s17
	s_load_dwordx2 s[20:21], s[0:1], 0x0
	s_clause 0x2
	s_load_dwordx2 s[16:17], s[4:5], 0x20
	s_load_dwordx2 s[18:19], s[4:5], 0x30
	;; [unrolled: 1-line block ×3, first 2 shown]
	v_cmp_gt_i32_e64 s0, s15, v0
	v_cmp_eq_u32_e64 s1, 3, v0
	s_waitcnt lgkmcnt(0)
	s_sub_i32 s9, s20, s8
	s_sub_i32 s11, s21, s8
	v_mad_u64_u32 v[2:3], null, s14, s9, v[1:2]
	v_cndmask_b32_e32 v3, v4, v5, vcc_lo
	v_lshlrev_b32_e32 v4, 2, v6
	s_cmp_lt_i32 s20, s21
	s_mov_b32 s20, 0
	s_cselect_b32 s13, -1, 0
	v_lshlrev_b32_e32 v5, 2, v3
	v_mul_lo_u32 v6, s15, v2
	s_cmp_lg_u32 s7, 0
	s_cselect_b32 s21, -1, 0
	s_lshl_b32 s24, s15, 5
	s_branch .LBB1_8
.LBB1_7:                                ;   in Loop: Header=BB1_8 Depth=1
	s_or_b32 exec_lo, exec_lo, s6
	v_add_nc_u32_e32 v1, 32, v1
	v_add_nc_u32_e32 v6, s24, v6
	v_cmp_le_i32_e32 vcc_lo, s14, v1
	s_or_b32 s20, vcc_lo, s20
	s_andn2_b32 exec_lo, exec_lo, s20
	s_cbranch_execz .LBB1_24
.LBB1_8:                                ; =>This Loop Header: Depth=1
                                        ;     Child Loop BB1_12 Depth 2
                                        ;       Child Loop BB1_15 Depth 3
	v_mov_b32_e32 v7, 0
	s_andn2_b32 vcc_lo, exec_lo, s13
	s_cbranch_vccnz .LBB1_19
; %bb.9:                                ;   in Loop: Header=BB1_8 Depth=1
	v_mov_b32_e32 v7, 0
	v_mov_b32_e32 v8, v6
	s_mov_b32 s6, s9
	s_branch .LBB1_12
.LBB1_10:                               ;   in Loop: Header=BB1_12 Depth=2
	s_inst_prefetch 0x2
	s_or_b32 exec_lo, exec_lo, s27
.LBB1_11:                               ;   in Loop: Header=BB1_12 Depth=2
	s_or_b32 exec_lo, exec_lo, s26
	v_add_nc_u32_e32 v8, s25, v8
	s_add_i32 s6, s6, 1
	s_cmp_ge_i32 s6, s11
	s_cbranch_scc1 .LBB1_19
.LBB1_12:                               ;   Parent Loop BB1_8 Depth=1
                                        ; =>  This Loop Header: Depth=2
                                        ;       Child Loop BB1_15 Depth 3
	s_and_saveexec_b32 s26, s0
	s_cbranch_execz .LBB1_11
; %bb.13:                               ;   in Loop: Header=BB1_12 Depth=2
	s_ashr_i32 s7, s6, 31
	v_mov_b32_e32 v9, v0
	s_lshl_b64 s[28:29], s[6:7], 2
	s_mov_b32 s27, 0
	s_add_u32 s28, s2, s28
	s_addc_u32 s29, s3, s29
	s_load_dword s7, s[28:29], 0x0
	s_waitcnt lgkmcnt(0)
	s_sub_i32 s28, s7, s8
	s_mul_i32 s7, s6, s15
	s_mul_i32 s28, s28, s15
	s_inst_prefetch 0x1
	s_branch .LBB1_15
	.p2align	6
.LBB1_14:                               ;   in Loop: Header=BB1_15 Depth=3
	v_add_nc_u32_e32 v10, s28, v9
	v_ashrrev_i32_e32 v3, 31, v2
	v_add_nc_u32_e32 v9, 4, v9
	v_ashrrev_i32_e32 v11, 31, v10
	v_lshlrev_b64 v[2:3], 2, v[2:3]
	v_lshlrev_b64 v[10:11], 2, v[10:11]
	v_add_co_u32 v2, vcc_lo, s16, v2
	v_add_co_ci_u32_e64 v3, null, s17, v3, vcc_lo
	v_add_co_u32 v10, vcc_lo, s18, v10
	v_add_co_ci_u32_e64 v11, null, s19, v11, vcc_lo
	v_cmp_le_i32_e32 vcc_lo, s15, v9
	global_load_dword v2, v[2:3], off
	global_load_dword v3, v[10:11], off
	s_or_b32 s27, vcc_lo, s27
	s_waitcnt vmcnt(0)
	v_fmac_f32_e32 v7, v2, v3
	s_andn2_b32 exec_lo, exec_lo, s27
	s_cbranch_execz .LBB1_10
.LBB1_15:                               ;   Parent Loop BB1_8 Depth=1
                                        ;     Parent Loop BB1_12 Depth=2
                                        ; =>    This Inner Loop Header: Depth=3
	s_and_b32 vcc_lo, exec_lo, s21
	s_cbranch_vccz .LBB1_17
; %bb.16:                               ;   in Loop: Header=BB1_15 Depth=3
	v_add_nc_u32_e32 v2, s7, v9
	v_mad_u64_u32 v[2:3], null, v2, s14, v[1:2]
	s_cbranch_execnz .LBB1_14
	s_branch .LBB1_18
	.p2align	6
.LBB1_17:                               ;   in Loop: Header=BB1_15 Depth=3
                                        ; implicit-def: $vgpr2
.LBB1_18:                               ;   in Loop: Header=BB1_15 Depth=3
	v_add_nc_u32_e32 v2, v8, v9
	s_branch .LBB1_14
.LBB1_19:                               ;   in Loop: Header=BB1_8 Depth=1
	ds_bpermute_b32 v2, v4, v7
	s_waitcnt lgkmcnt(0)
	v_add_f32_e32 v2, v7, v2
	ds_bpermute_b32 v3, v5, v2
	s_and_saveexec_b32 s6, s1
	s_cbranch_execz .LBB1_7
; %bb.20:                               ;   in Loop: Header=BB1_8 Depth=1
	s_waitcnt lgkmcnt(0)
	v_add_f32_e32 v3, v2, v3
	v_add_nc_u32_e32 v2, s23, v1
	s_and_b32 vcc_lo, exec_lo, s22
	v_mul_f32_e32 v7, s10, v3
	v_ashrrev_i32_e32 v3, 31, v2
	s_cbranch_vccz .LBB1_22
; %bb.21:                               ;   in Loop: Header=BB1_8 Depth=1
	v_lshlrev_b64 v[8:9], 2, v[2:3]
	v_add_co_u32 v8, vcc_lo, s4, v8
	v_add_co_ci_u32_e64 v9, null, s5, v9, vcc_lo
	global_store_dword v[8:9], v7, off
	s_cbranch_execnz .LBB1_7
	s_branch .LBB1_23
.LBB1_22:                               ;   in Loop: Header=BB1_8 Depth=1
.LBB1_23:                               ;   in Loop: Header=BB1_8 Depth=1
	v_lshlrev_b64 v[2:3], 2, v[2:3]
	v_add_co_u32 v2, vcc_lo, s4, v2
	v_add_co_ci_u32_e64 v3, null, s5, v3, vcc_lo
	global_load_dword v8, v[2:3], off
	s_waitcnt vmcnt(0)
	v_fmac_f32_e32 v7, s12, v8
	global_store_dword v[2:3], v7, off
	s_branch .LBB1_7
.LBB1_24:
	s_endpgm
	.section	.rodata,"a",@progbits
	.p2align	6, 0x0
	.amdhsa_kernel _ZN9rocsparseL23gebsrmvn_general_kernelILj128ELj4EfEEvi20rocsparse_direction_NS_24const_host_device_scalarIT1_EEPKiS6_PKS3_iiS8_S4_PS3_21rocsparse_index_base_b
		.amdhsa_group_segment_fixed_size 0
		.amdhsa_private_segment_fixed_size 0
		.amdhsa_kernarg_size 80
		.amdhsa_user_sgpr_count 6
		.amdhsa_user_sgpr_private_segment_buffer 1
		.amdhsa_user_sgpr_dispatch_ptr 0
		.amdhsa_user_sgpr_queue_ptr 0
		.amdhsa_user_sgpr_kernarg_segment_ptr 1
		.amdhsa_user_sgpr_dispatch_id 0
		.amdhsa_user_sgpr_flat_scratch_init 0
		.amdhsa_user_sgpr_private_segment_size 0
		.amdhsa_wavefront_size32 1
		.amdhsa_uses_dynamic_stack 0
		.amdhsa_system_sgpr_private_segment_wavefront_offset 0
		.amdhsa_system_sgpr_workgroup_id_x 1
		.amdhsa_system_sgpr_workgroup_id_y 0
		.amdhsa_system_sgpr_workgroup_id_z 0
		.amdhsa_system_sgpr_workgroup_info 0
		.amdhsa_system_vgpr_workitem_id 0
		.amdhsa_next_free_vgpr 12
		.amdhsa_next_free_sgpr 30
		.amdhsa_reserve_vcc 1
		.amdhsa_reserve_flat_scratch 0
		.amdhsa_float_round_mode_32 0
		.amdhsa_float_round_mode_16_64 0
		.amdhsa_float_denorm_mode_32 3
		.amdhsa_float_denorm_mode_16_64 3
		.amdhsa_dx10_clamp 1
		.amdhsa_ieee_mode 1
		.amdhsa_fp16_overflow 0
		.amdhsa_workgroup_processor_mode 1
		.amdhsa_memory_ordered 1
		.amdhsa_forward_progress 1
		.amdhsa_shared_vgpr_count 0
		.amdhsa_exception_fp_ieee_invalid_op 0
		.amdhsa_exception_fp_denorm_src 0
		.amdhsa_exception_fp_ieee_div_zero 0
		.amdhsa_exception_fp_ieee_overflow 0
		.amdhsa_exception_fp_ieee_underflow 0
		.amdhsa_exception_fp_ieee_inexact 0
		.amdhsa_exception_int_div_zero 0
	.end_amdhsa_kernel
	.section	.text._ZN9rocsparseL23gebsrmvn_general_kernelILj128ELj4EfEEvi20rocsparse_direction_NS_24const_host_device_scalarIT1_EEPKiS6_PKS3_iiS8_S4_PS3_21rocsparse_index_base_b,"axG",@progbits,_ZN9rocsparseL23gebsrmvn_general_kernelILj128ELj4EfEEvi20rocsparse_direction_NS_24const_host_device_scalarIT1_EEPKiS6_PKS3_iiS8_S4_PS3_21rocsparse_index_base_b,comdat
.Lfunc_end1:
	.size	_ZN9rocsparseL23gebsrmvn_general_kernelILj128ELj4EfEEvi20rocsparse_direction_NS_24const_host_device_scalarIT1_EEPKiS6_PKS3_iiS8_S4_PS3_21rocsparse_index_base_b, .Lfunc_end1-_ZN9rocsparseL23gebsrmvn_general_kernelILj128ELj4EfEEvi20rocsparse_direction_NS_24const_host_device_scalarIT1_EEPKiS6_PKS3_iiS8_S4_PS3_21rocsparse_index_base_b
                                        ; -- End function
	.set _ZN9rocsparseL23gebsrmvn_general_kernelILj128ELj4EfEEvi20rocsparse_direction_NS_24const_host_device_scalarIT1_EEPKiS6_PKS3_iiS8_S4_PS3_21rocsparse_index_base_b.num_vgpr, 12
	.set _ZN9rocsparseL23gebsrmvn_general_kernelILj128ELj4EfEEvi20rocsparse_direction_NS_24const_host_device_scalarIT1_EEPKiS6_PKS3_iiS8_S4_PS3_21rocsparse_index_base_b.num_agpr, 0
	.set _ZN9rocsparseL23gebsrmvn_general_kernelILj128ELj4EfEEvi20rocsparse_direction_NS_24const_host_device_scalarIT1_EEPKiS6_PKS3_iiS8_S4_PS3_21rocsparse_index_base_b.numbered_sgpr, 30
	.set _ZN9rocsparseL23gebsrmvn_general_kernelILj128ELj4EfEEvi20rocsparse_direction_NS_24const_host_device_scalarIT1_EEPKiS6_PKS3_iiS8_S4_PS3_21rocsparse_index_base_b.num_named_barrier, 0
	.set _ZN9rocsparseL23gebsrmvn_general_kernelILj128ELj4EfEEvi20rocsparse_direction_NS_24const_host_device_scalarIT1_EEPKiS6_PKS3_iiS8_S4_PS3_21rocsparse_index_base_b.private_seg_size, 0
	.set _ZN9rocsparseL23gebsrmvn_general_kernelILj128ELj4EfEEvi20rocsparse_direction_NS_24const_host_device_scalarIT1_EEPKiS6_PKS3_iiS8_S4_PS3_21rocsparse_index_base_b.uses_vcc, 1
	.set _ZN9rocsparseL23gebsrmvn_general_kernelILj128ELj4EfEEvi20rocsparse_direction_NS_24const_host_device_scalarIT1_EEPKiS6_PKS3_iiS8_S4_PS3_21rocsparse_index_base_b.uses_flat_scratch, 0
	.set _ZN9rocsparseL23gebsrmvn_general_kernelILj128ELj4EfEEvi20rocsparse_direction_NS_24const_host_device_scalarIT1_EEPKiS6_PKS3_iiS8_S4_PS3_21rocsparse_index_base_b.has_dyn_sized_stack, 0
	.set _ZN9rocsparseL23gebsrmvn_general_kernelILj128ELj4EfEEvi20rocsparse_direction_NS_24const_host_device_scalarIT1_EEPKiS6_PKS3_iiS8_S4_PS3_21rocsparse_index_base_b.has_recursion, 0
	.set _ZN9rocsparseL23gebsrmvn_general_kernelILj128ELj4EfEEvi20rocsparse_direction_NS_24const_host_device_scalarIT1_EEPKiS6_PKS3_iiS8_S4_PS3_21rocsparse_index_base_b.has_indirect_call, 0
	.section	.AMDGPU.csdata,"",@progbits
; Kernel info:
; codeLenInByte = 868
; TotalNumSgprs: 32
; NumVgprs: 12
; ScratchSize: 0
; MemoryBound: 0
; FloatMode: 240
; IeeeMode: 1
; LDSByteSize: 0 bytes/workgroup (compile time only)
; SGPRBlocks: 0
; VGPRBlocks: 1
; NumSGPRsForWavesPerEU: 32
; NumVGPRsForWavesPerEU: 12
; Occupancy: 16
; WaveLimiterHint : 1
; COMPUTE_PGM_RSRC2:SCRATCH_EN: 0
; COMPUTE_PGM_RSRC2:USER_SGPR: 6
; COMPUTE_PGM_RSRC2:TRAP_HANDLER: 0
; COMPUTE_PGM_RSRC2:TGID_X_EN: 1
; COMPUTE_PGM_RSRC2:TGID_Y_EN: 0
; COMPUTE_PGM_RSRC2:TGID_Z_EN: 0
; COMPUTE_PGM_RSRC2:TIDIG_COMP_CNT: 0
	.section	.text._ZN9rocsparseL23gebsrmvn_general_kernelILj256ELj8EfEEvi20rocsparse_direction_NS_24const_host_device_scalarIT1_EEPKiS6_PKS3_iiS8_S4_PS3_21rocsparse_index_base_b,"axG",@progbits,_ZN9rocsparseL23gebsrmvn_general_kernelILj256ELj8EfEEvi20rocsparse_direction_NS_24const_host_device_scalarIT1_EEPKiS6_PKS3_iiS8_S4_PS3_21rocsparse_index_base_b,comdat
	.globl	_ZN9rocsparseL23gebsrmvn_general_kernelILj256ELj8EfEEvi20rocsparse_direction_NS_24const_host_device_scalarIT1_EEPKiS6_PKS3_iiS8_S4_PS3_21rocsparse_index_base_b ; -- Begin function _ZN9rocsparseL23gebsrmvn_general_kernelILj256ELj8EfEEvi20rocsparse_direction_NS_24const_host_device_scalarIT1_EEPKiS6_PKS3_iiS8_S4_PS3_21rocsparse_index_base_b
	.p2align	8
	.type	_ZN9rocsparseL23gebsrmvn_general_kernelILj256ELj8EfEEvi20rocsparse_direction_NS_24const_host_device_scalarIT1_EEPKiS6_PKS3_iiS8_S4_PS3_21rocsparse_index_base_b,@function
_ZN9rocsparseL23gebsrmvn_general_kernelILj256ELj8EfEEvi20rocsparse_direction_NS_24const_host_device_scalarIT1_EEPKiS6_PKS3_iiS8_S4_PS3_21rocsparse_index_base_b: ; @_ZN9rocsparseL23gebsrmvn_general_kernelILj256ELj8EfEEvi20rocsparse_direction_NS_24const_host_device_scalarIT1_EEPKiS6_PKS3_iiS8_S4_PS3_21rocsparse_index_base_b
; %bb.0:
	s_clause 0x2
	s_load_dwordx2 s[8:9], s[4:5], 0x48
	s_load_dwordx2 s[10:11], s[4:5], 0x8
	s_load_dwordx2 s[12:13], s[4:5], 0x38
	s_waitcnt lgkmcnt(0)
	s_bitcmp1_b32 s9, 0
	s_cselect_b32 s0, -1, 0
	s_and_b32 vcc_lo, exec_lo, s0
	s_xor_b32 s0, s0, -1
	s_cbranch_vccnz .LBB2_2
; %bb.1:
	s_load_dword s10, s[10:11], 0x0
.LBB2_2:
	s_andn2_b32 vcc_lo, exec_lo, s0
	s_cbranch_vccnz .LBB2_4
; %bb.3:
	s_load_dword s12, s[12:13], 0x0
.LBB2_4:
	s_waitcnt lgkmcnt(0)
	v_cmp_eq_f32_e64 s0, s10, 0
	v_cmp_eq_f32_e64 s1, s12, 1.0
	s_and_b32 s0, s0, s1
	s_and_b32 vcc_lo, exec_lo, s0
	s_cbranch_vccnz .LBB2_24
; %bb.5:
	s_load_dwordx2 s[14:15], s[4:5], 0x28
	v_lshrrev_b32_e32 v1, 3, v0
	s_mov_b32 s0, exec_lo
	s_waitcnt lgkmcnt(0)
	v_cmpx_gt_i32_e64 s14, v1
	s_cbranch_execz .LBB2_24
; %bb.6:
	s_load_dwordx4 s[0:3], s[4:5], 0x10
	s_ashr_i32 s7, s6, 31
	v_mbcnt_lo_u32_b32 v4, -1, 0
	s_lshl_b64 s[16:17], s[6:7], 2
	s_load_dword s7, s[4:5], 0x4
	v_and_b32_e32 v0, 7, v0
	v_cmp_eq_f32_e64 s22, s12, 0
	v_xor_b32_e32 v2, 4, v4
	v_xor_b32_e32 v3, 2, v4
	v_xor_b32_e32 v5, 1, v4
	s_mul_i32 s23, s14, s6
	s_mul_i32 s25, s15, s14
	v_cmp_gt_i32_e32 vcc_lo, 32, v2
	v_cndmask_b32_e32 v6, v4, v2, vcc_lo
	v_cmp_gt_i32_e32 vcc_lo, 32, v3
	s_waitcnt lgkmcnt(0)
	s_add_u32 s0, s0, s16
	s_addc_u32 s1, s1, s17
	v_cndmask_b32_e32 v7, v4, v3, vcc_lo
	s_load_dwordx2 s[20:21], s[0:1], 0x0
	s_clause 0x2
	s_load_dwordx2 s[16:17], s[4:5], 0x20
	s_load_dwordx2 s[18:19], s[4:5], 0x30
	;; [unrolled: 1-line block ×3, first 2 shown]
	v_cmp_gt_i32_e32 vcc_lo, 32, v5
	v_cmp_gt_i32_e64 s0, s15, v0
	v_cmp_eq_u32_e64 s1, 7, v0
	s_waitcnt lgkmcnt(0)
	s_sub_i32 s9, s20, s8
	s_sub_i32 s11, s21, s8
	v_mad_u64_u32 v[2:3], null, s14, s9, v[1:2]
	v_cndmask_b32_e32 v3, v4, v5, vcc_lo
	v_lshlrev_b32_e32 v5, 2, v7
	s_cmp_lt_i32 s20, s21
	v_lshlrev_b32_e32 v4, 2, v6
	s_cselect_b32 s13, -1, 0
	v_lshlrev_b32_e32 v6, 2, v3
	v_mul_lo_u32 v7, s15, v2
	s_cmp_lg_u32 s7, 0
	s_mov_b32 s20, 0
	s_cselect_b32 s21, -1, 0
	s_lshl_b32 s24, s15, 5
	s_branch .LBB2_8
.LBB2_7:                                ;   in Loop: Header=BB2_8 Depth=1
	s_or_b32 exec_lo, exec_lo, s6
	v_add_nc_u32_e32 v1, 32, v1
	v_add_nc_u32_e32 v7, s24, v7
	v_cmp_le_i32_e32 vcc_lo, s14, v1
	s_or_b32 s20, vcc_lo, s20
	s_andn2_b32 exec_lo, exec_lo, s20
	s_cbranch_execz .LBB2_24
.LBB2_8:                                ; =>This Loop Header: Depth=1
                                        ;     Child Loop BB2_12 Depth 2
                                        ;       Child Loop BB2_15 Depth 3
	v_mov_b32_e32 v8, 0
	s_andn2_b32 vcc_lo, exec_lo, s13
	s_cbranch_vccnz .LBB2_19
; %bb.9:                                ;   in Loop: Header=BB2_8 Depth=1
	v_mov_b32_e32 v8, 0
	v_mov_b32_e32 v9, v7
	s_mov_b32 s6, s9
	s_branch .LBB2_12
.LBB2_10:                               ;   in Loop: Header=BB2_12 Depth=2
	s_inst_prefetch 0x2
	s_or_b32 exec_lo, exec_lo, s27
.LBB2_11:                               ;   in Loop: Header=BB2_12 Depth=2
	s_or_b32 exec_lo, exec_lo, s26
	v_add_nc_u32_e32 v9, s25, v9
	s_add_i32 s6, s6, 1
	s_cmp_ge_i32 s6, s11
	s_cbranch_scc1 .LBB2_19
.LBB2_12:                               ;   Parent Loop BB2_8 Depth=1
                                        ; =>  This Loop Header: Depth=2
                                        ;       Child Loop BB2_15 Depth 3
	s_and_saveexec_b32 s26, s0
	s_cbranch_execz .LBB2_11
; %bb.13:                               ;   in Loop: Header=BB2_12 Depth=2
	s_ashr_i32 s7, s6, 31
	v_mov_b32_e32 v10, v0
	s_lshl_b64 s[28:29], s[6:7], 2
	s_mov_b32 s27, 0
	s_add_u32 s28, s2, s28
	s_addc_u32 s29, s3, s29
	s_load_dword s7, s[28:29], 0x0
	s_waitcnt lgkmcnt(0)
	s_sub_i32 s28, s7, s8
	s_mul_i32 s7, s6, s15
	s_mul_i32 s28, s28, s15
	s_inst_prefetch 0x1
	s_branch .LBB2_15
	.p2align	6
.LBB2_14:                               ;   in Loop: Header=BB2_15 Depth=3
	v_add_nc_u32_e32 v11, s28, v10
	v_ashrrev_i32_e32 v3, 31, v2
	v_add_nc_u32_e32 v10, 8, v10
	v_ashrrev_i32_e32 v12, 31, v11
	v_lshlrev_b64 v[2:3], 2, v[2:3]
	v_lshlrev_b64 v[11:12], 2, v[11:12]
	v_add_co_u32 v2, vcc_lo, s16, v2
	v_add_co_ci_u32_e64 v3, null, s17, v3, vcc_lo
	v_add_co_u32 v11, vcc_lo, s18, v11
	v_add_co_ci_u32_e64 v12, null, s19, v12, vcc_lo
	v_cmp_le_i32_e32 vcc_lo, s15, v10
	global_load_dword v2, v[2:3], off
	global_load_dword v3, v[11:12], off
	s_or_b32 s27, vcc_lo, s27
	s_waitcnt vmcnt(0)
	v_fmac_f32_e32 v8, v2, v3
	s_andn2_b32 exec_lo, exec_lo, s27
	s_cbranch_execz .LBB2_10
.LBB2_15:                               ;   Parent Loop BB2_8 Depth=1
                                        ;     Parent Loop BB2_12 Depth=2
                                        ; =>    This Inner Loop Header: Depth=3
	s_and_b32 vcc_lo, exec_lo, s21
	s_cbranch_vccz .LBB2_17
; %bb.16:                               ;   in Loop: Header=BB2_15 Depth=3
	v_add_nc_u32_e32 v2, s7, v10
	v_mad_u64_u32 v[2:3], null, v2, s14, v[1:2]
	s_cbranch_execnz .LBB2_14
	s_branch .LBB2_18
	.p2align	6
.LBB2_17:                               ;   in Loop: Header=BB2_15 Depth=3
                                        ; implicit-def: $vgpr2
.LBB2_18:                               ;   in Loop: Header=BB2_15 Depth=3
	v_add_nc_u32_e32 v2, v9, v10
	s_branch .LBB2_14
.LBB2_19:                               ;   in Loop: Header=BB2_8 Depth=1
	ds_bpermute_b32 v2, v4, v8
	s_waitcnt lgkmcnt(0)
	v_add_f32_e32 v2, v8, v2
	ds_bpermute_b32 v3, v5, v2
	s_waitcnt lgkmcnt(0)
	v_add_f32_e32 v2, v2, v3
	ds_bpermute_b32 v3, v6, v2
	s_and_saveexec_b32 s6, s1
	s_cbranch_execz .LBB2_7
; %bb.20:                               ;   in Loop: Header=BB2_8 Depth=1
	s_waitcnt lgkmcnt(0)
	v_add_f32_e32 v3, v2, v3
	v_add_nc_u32_e32 v2, s23, v1
	s_and_b32 vcc_lo, exec_lo, s22
	v_mul_f32_e32 v8, s10, v3
	v_ashrrev_i32_e32 v3, 31, v2
	s_cbranch_vccz .LBB2_22
; %bb.21:                               ;   in Loop: Header=BB2_8 Depth=1
	v_lshlrev_b64 v[9:10], 2, v[2:3]
	v_add_co_u32 v9, vcc_lo, s4, v9
	v_add_co_ci_u32_e64 v10, null, s5, v10, vcc_lo
	global_store_dword v[9:10], v8, off
	s_cbranch_execnz .LBB2_7
	s_branch .LBB2_23
.LBB2_22:                               ;   in Loop: Header=BB2_8 Depth=1
.LBB2_23:                               ;   in Loop: Header=BB2_8 Depth=1
	v_lshlrev_b64 v[2:3], 2, v[2:3]
	v_add_co_u32 v2, vcc_lo, s4, v2
	v_add_co_ci_u32_e64 v3, null, s5, v3, vcc_lo
	global_load_dword v9, v[2:3], off
	s_waitcnt vmcnt(0)
	v_fmac_f32_e32 v8, s12, v9
	global_store_dword v[2:3], v8, off
	s_branch .LBB2_7
.LBB2_24:
	s_endpgm
	.section	.rodata,"a",@progbits
	.p2align	6, 0x0
	.amdhsa_kernel _ZN9rocsparseL23gebsrmvn_general_kernelILj256ELj8EfEEvi20rocsparse_direction_NS_24const_host_device_scalarIT1_EEPKiS6_PKS3_iiS8_S4_PS3_21rocsparse_index_base_b
		.amdhsa_group_segment_fixed_size 0
		.amdhsa_private_segment_fixed_size 0
		.amdhsa_kernarg_size 80
		.amdhsa_user_sgpr_count 6
		.amdhsa_user_sgpr_private_segment_buffer 1
		.amdhsa_user_sgpr_dispatch_ptr 0
		.amdhsa_user_sgpr_queue_ptr 0
		.amdhsa_user_sgpr_kernarg_segment_ptr 1
		.amdhsa_user_sgpr_dispatch_id 0
		.amdhsa_user_sgpr_flat_scratch_init 0
		.amdhsa_user_sgpr_private_segment_size 0
		.amdhsa_wavefront_size32 1
		.amdhsa_uses_dynamic_stack 0
		.amdhsa_system_sgpr_private_segment_wavefront_offset 0
		.amdhsa_system_sgpr_workgroup_id_x 1
		.amdhsa_system_sgpr_workgroup_id_y 0
		.amdhsa_system_sgpr_workgroup_id_z 0
		.amdhsa_system_sgpr_workgroup_info 0
		.amdhsa_system_vgpr_workitem_id 0
		.amdhsa_next_free_vgpr 13
		.amdhsa_next_free_sgpr 30
		.amdhsa_reserve_vcc 1
		.amdhsa_reserve_flat_scratch 0
		.amdhsa_float_round_mode_32 0
		.amdhsa_float_round_mode_16_64 0
		.amdhsa_float_denorm_mode_32 3
		.amdhsa_float_denorm_mode_16_64 3
		.amdhsa_dx10_clamp 1
		.amdhsa_ieee_mode 1
		.amdhsa_fp16_overflow 0
		.amdhsa_workgroup_processor_mode 1
		.amdhsa_memory_ordered 1
		.amdhsa_forward_progress 1
		.amdhsa_shared_vgpr_count 0
		.amdhsa_exception_fp_ieee_invalid_op 0
		.amdhsa_exception_fp_denorm_src 0
		.amdhsa_exception_fp_ieee_div_zero 0
		.amdhsa_exception_fp_ieee_overflow 0
		.amdhsa_exception_fp_ieee_underflow 0
		.amdhsa_exception_fp_ieee_inexact 0
		.amdhsa_exception_int_div_zero 0
	.end_amdhsa_kernel
	.section	.text._ZN9rocsparseL23gebsrmvn_general_kernelILj256ELj8EfEEvi20rocsparse_direction_NS_24const_host_device_scalarIT1_EEPKiS6_PKS3_iiS8_S4_PS3_21rocsparse_index_base_b,"axG",@progbits,_ZN9rocsparseL23gebsrmvn_general_kernelILj256ELj8EfEEvi20rocsparse_direction_NS_24const_host_device_scalarIT1_EEPKiS6_PKS3_iiS8_S4_PS3_21rocsparse_index_base_b,comdat
.Lfunc_end2:
	.size	_ZN9rocsparseL23gebsrmvn_general_kernelILj256ELj8EfEEvi20rocsparse_direction_NS_24const_host_device_scalarIT1_EEPKiS6_PKS3_iiS8_S4_PS3_21rocsparse_index_base_b, .Lfunc_end2-_ZN9rocsparseL23gebsrmvn_general_kernelILj256ELj8EfEEvi20rocsparse_direction_NS_24const_host_device_scalarIT1_EEPKiS6_PKS3_iiS8_S4_PS3_21rocsparse_index_base_b
                                        ; -- End function
	.set _ZN9rocsparseL23gebsrmvn_general_kernelILj256ELj8EfEEvi20rocsparse_direction_NS_24const_host_device_scalarIT1_EEPKiS6_PKS3_iiS8_S4_PS3_21rocsparse_index_base_b.num_vgpr, 13
	.set _ZN9rocsparseL23gebsrmvn_general_kernelILj256ELj8EfEEvi20rocsparse_direction_NS_24const_host_device_scalarIT1_EEPKiS6_PKS3_iiS8_S4_PS3_21rocsparse_index_base_b.num_agpr, 0
	.set _ZN9rocsparseL23gebsrmvn_general_kernelILj256ELj8EfEEvi20rocsparse_direction_NS_24const_host_device_scalarIT1_EEPKiS6_PKS3_iiS8_S4_PS3_21rocsparse_index_base_b.numbered_sgpr, 30
	.set _ZN9rocsparseL23gebsrmvn_general_kernelILj256ELj8EfEEvi20rocsparse_direction_NS_24const_host_device_scalarIT1_EEPKiS6_PKS3_iiS8_S4_PS3_21rocsparse_index_base_b.num_named_barrier, 0
	.set _ZN9rocsparseL23gebsrmvn_general_kernelILj256ELj8EfEEvi20rocsparse_direction_NS_24const_host_device_scalarIT1_EEPKiS6_PKS3_iiS8_S4_PS3_21rocsparse_index_base_b.private_seg_size, 0
	.set _ZN9rocsparseL23gebsrmvn_general_kernelILj256ELj8EfEEvi20rocsparse_direction_NS_24const_host_device_scalarIT1_EEPKiS6_PKS3_iiS8_S4_PS3_21rocsparse_index_base_b.uses_vcc, 1
	.set _ZN9rocsparseL23gebsrmvn_general_kernelILj256ELj8EfEEvi20rocsparse_direction_NS_24const_host_device_scalarIT1_EEPKiS6_PKS3_iiS8_S4_PS3_21rocsparse_index_base_b.uses_flat_scratch, 0
	.set _ZN9rocsparseL23gebsrmvn_general_kernelILj256ELj8EfEEvi20rocsparse_direction_NS_24const_host_device_scalarIT1_EEPKiS6_PKS3_iiS8_S4_PS3_21rocsparse_index_base_b.has_dyn_sized_stack, 0
	.set _ZN9rocsparseL23gebsrmvn_general_kernelILj256ELj8EfEEvi20rocsparse_direction_NS_24const_host_device_scalarIT1_EEPKiS6_PKS3_iiS8_S4_PS3_21rocsparse_index_base_b.has_recursion, 0
	.set _ZN9rocsparseL23gebsrmvn_general_kernelILj256ELj8EfEEvi20rocsparse_direction_NS_24const_host_device_scalarIT1_EEPKiS6_PKS3_iiS8_S4_PS3_21rocsparse_index_base_b.has_indirect_call, 0
	.section	.AMDGPU.csdata,"",@progbits
; Kernel info:
; codeLenInByte = 884
; TotalNumSgprs: 32
; NumVgprs: 13
; ScratchSize: 0
; MemoryBound: 0
; FloatMode: 240
; IeeeMode: 1
; LDSByteSize: 0 bytes/workgroup (compile time only)
; SGPRBlocks: 0
; VGPRBlocks: 1
; NumSGPRsForWavesPerEU: 32
; NumVGPRsForWavesPerEU: 13
; Occupancy: 16
; WaveLimiterHint : 1
; COMPUTE_PGM_RSRC2:SCRATCH_EN: 0
; COMPUTE_PGM_RSRC2:USER_SGPR: 6
; COMPUTE_PGM_RSRC2:TRAP_HANDLER: 0
; COMPUTE_PGM_RSRC2:TGID_X_EN: 1
; COMPUTE_PGM_RSRC2:TGID_Y_EN: 0
; COMPUTE_PGM_RSRC2:TGID_Z_EN: 0
; COMPUTE_PGM_RSRC2:TIDIG_COMP_CNT: 0
	.section	.text._ZN9rocsparseL23gebsrmvn_general_kernelILj512ELj16EfEEvi20rocsparse_direction_NS_24const_host_device_scalarIT1_EEPKiS6_PKS3_iiS8_S4_PS3_21rocsparse_index_base_b,"axG",@progbits,_ZN9rocsparseL23gebsrmvn_general_kernelILj512ELj16EfEEvi20rocsparse_direction_NS_24const_host_device_scalarIT1_EEPKiS6_PKS3_iiS8_S4_PS3_21rocsparse_index_base_b,comdat
	.globl	_ZN9rocsparseL23gebsrmvn_general_kernelILj512ELj16EfEEvi20rocsparse_direction_NS_24const_host_device_scalarIT1_EEPKiS6_PKS3_iiS8_S4_PS3_21rocsparse_index_base_b ; -- Begin function _ZN9rocsparseL23gebsrmvn_general_kernelILj512ELj16EfEEvi20rocsparse_direction_NS_24const_host_device_scalarIT1_EEPKiS6_PKS3_iiS8_S4_PS3_21rocsparse_index_base_b
	.p2align	8
	.type	_ZN9rocsparseL23gebsrmvn_general_kernelILj512ELj16EfEEvi20rocsparse_direction_NS_24const_host_device_scalarIT1_EEPKiS6_PKS3_iiS8_S4_PS3_21rocsparse_index_base_b,@function
_ZN9rocsparseL23gebsrmvn_general_kernelILj512ELj16EfEEvi20rocsparse_direction_NS_24const_host_device_scalarIT1_EEPKiS6_PKS3_iiS8_S4_PS3_21rocsparse_index_base_b: ; @_ZN9rocsparseL23gebsrmvn_general_kernelILj512ELj16EfEEvi20rocsparse_direction_NS_24const_host_device_scalarIT1_EEPKiS6_PKS3_iiS8_S4_PS3_21rocsparse_index_base_b
; %bb.0:
	s_clause 0x2
	s_load_dwordx2 s[8:9], s[4:5], 0x48
	s_load_dwordx2 s[10:11], s[4:5], 0x8
	;; [unrolled: 1-line block ×3, first 2 shown]
	s_waitcnt lgkmcnt(0)
	s_bitcmp1_b32 s9, 0
	s_cselect_b32 s0, -1, 0
	s_and_b32 vcc_lo, exec_lo, s0
	s_xor_b32 s0, s0, -1
	s_cbranch_vccnz .LBB3_2
; %bb.1:
	s_load_dword s10, s[10:11], 0x0
.LBB3_2:
	s_andn2_b32 vcc_lo, exec_lo, s0
	s_cbranch_vccnz .LBB3_4
; %bb.3:
	s_load_dword s12, s[12:13], 0x0
.LBB3_4:
	s_waitcnt lgkmcnt(0)
	v_cmp_eq_f32_e64 s0, s10, 0
	v_cmp_eq_f32_e64 s1, s12, 1.0
	s_and_b32 s0, s0, s1
	s_and_b32 vcc_lo, exec_lo, s0
	s_cbranch_vccnz .LBB3_24
; %bb.5:
	s_load_dwordx2 s[14:15], s[4:5], 0x28
	v_lshrrev_b32_e32 v1, 4, v0
	s_mov_b32 s0, exec_lo
	s_waitcnt lgkmcnt(0)
	v_cmpx_gt_i32_e64 s14, v1
	s_cbranch_execz .LBB3_24
; %bb.6:
	s_load_dwordx4 s[0:3], s[4:5], 0x10
	s_ashr_i32 s7, s6, 31
	v_mbcnt_lo_u32_b32 v4, -1, 0
	s_lshl_b64 s[16:17], s[6:7], 2
	s_load_dword s7, s[4:5], 0x4
	v_and_b32_e32 v0, 15, v0
	v_cmp_eq_f32_e64 s22, s12, 0
	v_xor_b32_e32 v2, 8, v4
	v_xor_b32_e32 v3, 4, v4
	v_xor_b32_e32 v5, 2, v4
	v_xor_b32_e32 v6, 1, v4
	s_mov_b32 s9, 0
	v_cmp_gt_i32_e32 vcc_lo, 32, v2
	s_mul_i32 s23, s14, s6
	s_mul_i32 s25, s15, s14
	v_cndmask_b32_e32 v7, v4, v2, vcc_lo
	v_cmp_gt_i32_e32 vcc_lo, 32, v3
	s_waitcnt lgkmcnt(0)
	s_add_u32 s0, s0, s16
	s_addc_u32 s1, s1, s17
	v_cndmask_b32_e32 v8, v4, v3, vcc_lo
	s_load_dwordx2 s[20:21], s[0:1], 0x0
	s_clause 0x2
	s_load_dwordx2 s[16:17], s[4:5], 0x20
	s_load_dwordx2 s[18:19], s[4:5], 0x30
	;; [unrolled: 1-line block ×3, first 2 shown]
	v_cmp_gt_i32_e32 vcc_lo, 32, v5
	v_cmp_gt_i32_e64 s0, s15, v0
	v_cmp_eq_u32_e64 s1, 15, v0
	v_cndmask_b32_e32 v9, v4, v5, vcc_lo
	v_cmp_gt_i32_e32 vcc_lo, 32, v6
	v_lshlrev_b32_e32 v5, 2, v8
	s_waitcnt lgkmcnt(0)
	s_sub_i32 s11, s20, s8
	s_sub_i32 s13, s21, s8
	v_mad_u64_u32 v[2:3], null, s14, s11, v[1:2]
	v_cndmask_b32_e32 v3, v4, v6, vcc_lo
	s_cmp_lt_i32 s20, s21
	v_lshlrev_b32_e32 v4, 2, v7
	v_lshlrev_b32_e32 v6, 2, v9
	s_cselect_b32 s20, -1, 0
	v_lshlrev_b32_e32 v7, 2, v3
	v_mul_lo_u32 v8, s15, v2
	s_cmp_lg_u32 s7, 0
	s_cselect_b32 s21, -1, 0
	s_lshl_b32 s24, s15, 5
	s_branch .LBB3_8
.LBB3_7:                                ;   in Loop: Header=BB3_8 Depth=1
	s_or_b32 exec_lo, exec_lo, s6
	v_add_nc_u32_e32 v1, 32, v1
	v_add_nc_u32_e32 v8, s24, v8
	v_cmp_le_i32_e32 vcc_lo, s14, v1
	s_or_b32 s9, vcc_lo, s9
	s_andn2_b32 exec_lo, exec_lo, s9
	s_cbranch_execz .LBB3_24
.LBB3_8:                                ; =>This Loop Header: Depth=1
                                        ;     Child Loop BB3_12 Depth 2
                                        ;       Child Loop BB3_15 Depth 3
	v_mov_b32_e32 v9, 0
	s_andn2_b32 vcc_lo, exec_lo, s20
	s_cbranch_vccnz .LBB3_19
; %bb.9:                                ;   in Loop: Header=BB3_8 Depth=1
	v_mov_b32_e32 v9, 0
	v_mov_b32_e32 v10, v8
	s_mov_b32 s6, s11
	s_branch .LBB3_12
.LBB3_10:                               ;   in Loop: Header=BB3_12 Depth=2
	s_inst_prefetch 0x2
	s_or_b32 exec_lo, exec_lo, s27
.LBB3_11:                               ;   in Loop: Header=BB3_12 Depth=2
	s_or_b32 exec_lo, exec_lo, s26
	v_add_nc_u32_e32 v10, s25, v10
	s_add_i32 s6, s6, 1
	s_cmp_ge_i32 s6, s13
	s_cbranch_scc1 .LBB3_19
.LBB3_12:                               ;   Parent Loop BB3_8 Depth=1
                                        ; =>  This Loop Header: Depth=2
                                        ;       Child Loop BB3_15 Depth 3
	s_and_saveexec_b32 s26, s0
	s_cbranch_execz .LBB3_11
; %bb.13:                               ;   in Loop: Header=BB3_12 Depth=2
	s_ashr_i32 s7, s6, 31
	v_mov_b32_e32 v11, v0
	s_lshl_b64 s[28:29], s[6:7], 2
	s_mov_b32 s27, 0
	s_add_u32 s28, s2, s28
	s_addc_u32 s29, s3, s29
	s_load_dword s7, s[28:29], 0x0
	s_waitcnt lgkmcnt(0)
	s_sub_i32 s28, s7, s8
	s_mul_i32 s7, s6, s15
	s_mul_i32 s28, s28, s15
	s_inst_prefetch 0x1
	s_branch .LBB3_15
	.p2align	6
.LBB3_14:                               ;   in Loop: Header=BB3_15 Depth=3
	v_add_nc_u32_e32 v12, s28, v11
	v_ashrrev_i32_e32 v3, 31, v2
	v_add_nc_u32_e32 v11, 16, v11
	v_ashrrev_i32_e32 v13, 31, v12
	v_lshlrev_b64 v[2:3], 2, v[2:3]
	v_lshlrev_b64 v[12:13], 2, v[12:13]
	v_add_co_u32 v2, vcc_lo, s16, v2
	v_add_co_ci_u32_e64 v3, null, s17, v3, vcc_lo
	v_add_co_u32 v12, vcc_lo, s18, v12
	v_add_co_ci_u32_e64 v13, null, s19, v13, vcc_lo
	v_cmp_le_i32_e32 vcc_lo, s15, v11
	global_load_dword v2, v[2:3], off
	global_load_dword v3, v[12:13], off
	s_or_b32 s27, vcc_lo, s27
	s_waitcnt vmcnt(0)
	v_fmac_f32_e32 v9, v2, v3
	s_andn2_b32 exec_lo, exec_lo, s27
	s_cbranch_execz .LBB3_10
.LBB3_15:                               ;   Parent Loop BB3_8 Depth=1
                                        ;     Parent Loop BB3_12 Depth=2
                                        ; =>    This Inner Loop Header: Depth=3
	s_and_b32 vcc_lo, exec_lo, s21
	s_cbranch_vccz .LBB3_17
; %bb.16:                               ;   in Loop: Header=BB3_15 Depth=3
	v_add_nc_u32_e32 v2, s7, v11
	v_mad_u64_u32 v[2:3], null, v2, s14, v[1:2]
	s_cbranch_execnz .LBB3_14
	s_branch .LBB3_18
	.p2align	6
.LBB3_17:                               ;   in Loop: Header=BB3_15 Depth=3
                                        ; implicit-def: $vgpr2
.LBB3_18:                               ;   in Loop: Header=BB3_15 Depth=3
	v_add_nc_u32_e32 v2, v10, v11
	s_branch .LBB3_14
.LBB3_19:                               ;   in Loop: Header=BB3_8 Depth=1
	ds_bpermute_b32 v2, v4, v9
	s_waitcnt lgkmcnt(0)
	v_add_f32_e32 v2, v9, v2
	ds_bpermute_b32 v3, v5, v2
	s_waitcnt lgkmcnt(0)
	v_add_f32_e32 v2, v2, v3
	ds_bpermute_b32 v3, v6, v2
	s_waitcnt lgkmcnt(0)
	v_add_f32_e32 v2, v2, v3
	ds_bpermute_b32 v3, v7, v2
	s_and_saveexec_b32 s6, s1
	s_cbranch_execz .LBB3_7
; %bb.20:                               ;   in Loop: Header=BB3_8 Depth=1
	s_waitcnt lgkmcnt(0)
	v_add_f32_e32 v3, v2, v3
	v_add_nc_u32_e32 v2, s23, v1
	s_and_b32 vcc_lo, exec_lo, s22
	v_mul_f32_e32 v9, s10, v3
	v_ashrrev_i32_e32 v3, 31, v2
	s_cbranch_vccz .LBB3_22
; %bb.21:                               ;   in Loop: Header=BB3_8 Depth=1
	v_lshlrev_b64 v[10:11], 2, v[2:3]
	v_add_co_u32 v10, vcc_lo, s4, v10
	v_add_co_ci_u32_e64 v11, null, s5, v11, vcc_lo
	global_store_dword v[10:11], v9, off
	s_cbranch_execnz .LBB3_7
	s_branch .LBB3_23
.LBB3_22:                               ;   in Loop: Header=BB3_8 Depth=1
.LBB3_23:                               ;   in Loop: Header=BB3_8 Depth=1
	v_lshlrev_b64 v[2:3], 2, v[2:3]
	v_add_co_u32 v2, vcc_lo, s4, v2
	v_add_co_ci_u32_e64 v3, null, s5, v3, vcc_lo
	global_load_dword v10, v[2:3], off
	s_waitcnt vmcnt(0)
	v_fmac_f32_e32 v9, s12, v10
	global_store_dword v[2:3], v9, off
	s_branch .LBB3_7
.LBB3_24:
	s_endpgm
	.section	.rodata,"a",@progbits
	.p2align	6, 0x0
	.amdhsa_kernel _ZN9rocsparseL23gebsrmvn_general_kernelILj512ELj16EfEEvi20rocsparse_direction_NS_24const_host_device_scalarIT1_EEPKiS6_PKS3_iiS8_S4_PS3_21rocsparse_index_base_b
		.amdhsa_group_segment_fixed_size 0
		.amdhsa_private_segment_fixed_size 0
		.amdhsa_kernarg_size 80
		.amdhsa_user_sgpr_count 6
		.amdhsa_user_sgpr_private_segment_buffer 1
		.amdhsa_user_sgpr_dispatch_ptr 0
		.amdhsa_user_sgpr_queue_ptr 0
		.amdhsa_user_sgpr_kernarg_segment_ptr 1
		.amdhsa_user_sgpr_dispatch_id 0
		.amdhsa_user_sgpr_flat_scratch_init 0
		.amdhsa_user_sgpr_private_segment_size 0
		.amdhsa_wavefront_size32 1
		.amdhsa_uses_dynamic_stack 0
		.amdhsa_system_sgpr_private_segment_wavefront_offset 0
		.amdhsa_system_sgpr_workgroup_id_x 1
		.amdhsa_system_sgpr_workgroup_id_y 0
		.amdhsa_system_sgpr_workgroup_id_z 0
		.amdhsa_system_sgpr_workgroup_info 0
		.amdhsa_system_vgpr_workitem_id 0
		.amdhsa_next_free_vgpr 14
		.amdhsa_next_free_sgpr 30
		.amdhsa_reserve_vcc 1
		.amdhsa_reserve_flat_scratch 0
		.amdhsa_float_round_mode_32 0
		.amdhsa_float_round_mode_16_64 0
		.amdhsa_float_denorm_mode_32 3
		.amdhsa_float_denorm_mode_16_64 3
		.amdhsa_dx10_clamp 1
		.amdhsa_ieee_mode 1
		.amdhsa_fp16_overflow 0
		.amdhsa_workgroup_processor_mode 1
		.amdhsa_memory_ordered 1
		.amdhsa_forward_progress 1
		.amdhsa_shared_vgpr_count 0
		.amdhsa_exception_fp_ieee_invalid_op 0
		.amdhsa_exception_fp_denorm_src 0
		.amdhsa_exception_fp_ieee_div_zero 0
		.amdhsa_exception_fp_ieee_overflow 0
		.amdhsa_exception_fp_ieee_underflow 0
		.amdhsa_exception_fp_ieee_inexact 0
		.amdhsa_exception_int_div_zero 0
	.end_amdhsa_kernel
	.section	.text._ZN9rocsparseL23gebsrmvn_general_kernelILj512ELj16EfEEvi20rocsparse_direction_NS_24const_host_device_scalarIT1_EEPKiS6_PKS3_iiS8_S4_PS3_21rocsparse_index_base_b,"axG",@progbits,_ZN9rocsparseL23gebsrmvn_general_kernelILj512ELj16EfEEvi20rocsparse_direction_NS_24const_host_device_scalarIT1_EEPKiS6_PKS3_iiS8_S4_PS3_21rocsparse_index_base_b,comdat
.Lfunc_end3:
	.size	_ZN9rocsparseL23gebsrmvn_general_kernelILj512ELj16EfEEvi20rocsparse_direction_NS_24const_host_device_scalarIT1_EEPKiS6_PKS3_iiS8_S4_PS3_21rocsparse_index_base_b, .Lfunc_end3-_ZN9rocsparseL23gebsrmvn_general_kernelILj512ELj16EfEEvi20rocsparse_direction_NS_24const_host_device_scalarIT1_EEPKiS6_PKS3_iiS8_S4_PS3_21rocsparse_index_base_b
                                        ; -- End function
	.set _ZN9rocsparseL23gebsrmvn_general_kernelILj512ELj16EfEEvi20rocsparse_direction_NS_24const_host_device_scalarIT1_EEPKiS6_PKS3_iiS8_S4_PS3_21rocsparse_index_base_b.num_vgpr, 14
	.set _ZN9rocsparseL23gebsrmvn_general_kernelILj512ELj16EfEEvi20rocsparse_direction_NS_24const_host_device_scalarIT1_EEPKiS6_PKS3_iiS8_S4_PS3_21rocsparse_index_base_b.num_agpr, 0
	.set _ZN9rocsparseL23gebsrmvn_general_kernelILj512ELj16EfEEvi20rocsparse_direction_NS_24const_host_device_scalarIT1_EEPKiS6_PKS3_iiS8_S4_PS3_21rocsparse_index_base_b.numbered_sgpr, 30
	.set _ZN9rocsparseL23gebsrmvn_general_kernelILj512ELj16EfEEvi20rocsparse_direction_NS_24const_host_device_scalarIT1_EEPKiS6_PKS3_iiS8_S4_PS3_21rocsparse_index_base_b.num_named_barrier, 0
	.set _ZN9rocsparseL23gebsrmvn_general_kernelILj512ELj16EfEEvi20rocsparse_direction_NS_24const_host_device_scalarIT1_EEPKiS6_PKS3_iiS8_S4_PS3_21rocsparse_index_base_b.private_seg_size, 0
	.set _ZN9rocsparseL23gebsrmvn_general_kernelILj512ELj16EfEEvi20rocsparse_direction_NS_24const_host_device_scalarIT1_EEPKiS6_PKS3_iiS8_S4_PS3_21rocsparse_index_base_b.uses_vcc, 1
	.set _ZN9rocsparseL23gebsrmvn_general_kernelILj512ELj16EfEEvi20rocsparse_direction_NS_24const_host_device_scalarIT1_EEPKiS6_PKS3_iiS8_S4_PS3_21rocsparse_index_base_b.uses_flat_scratch, 0
	.set _ZN9rocsparseL23gebsrmvn_general_kernelILj512ELj16EfEEvi20rocsparse_direction_NS_24const_host_device_scalarIT1_EEPKiS6_PKS3_iiS8_S4_PS3_21rocsparse_index_base_b.has_dyn_sized_stack, 0
	.set _ZN9rocsparseL23gebsrmvn_general_kernelILj512ELj16EfEEvi20rocsparse_direction_NS_24const_host_device_scalarIT1_EEPKiS6_PKS3_iiS8_S4_PS3_21rocsparse_index_base_b.has_recursion, 0
	.set _ZN9rocsparseL23gebsrmvn_general_kernelILj512ELj16EfEEvi20rocsparse_direction_NS_24const_host_device_scalarIT1_EEPKiS6_PKS3_iiS8_S4_PS3_21rocsparse_index_base_b.has_indirect_call, 0
	.section	.AMDGPU.csdata,"",@progbits
; Kernel info:
; codeLenInByte = 964
; TotalNumSgprs: 32
; NumVgprs: 14
; ScratchSize: 0
; MemoryBound: 0
; FloatMode: 240
; IeeeMode: 1
; LDSByteSize: 0 bytes/workgroup (compile time only)
; SGPRBlocks: 0
; VGPRBlocks: 1
; NumSGPRsForWavesPerEU: 32
; NumVGPRsForWavesPerEU: 14
; Occupancy: 16
; WaveLimiterHint : 1
; COMPUTE_PGM_RSRC2:SCRATCH_EN: 0
; COMPUTE_PGM_RSRC2:USER_SGPR: 6
; COMPUTE_PGM_RSRC2:TRAP_HANDLER: 0
; COMPUTE_PGM_RSRC2:TGID_X_EN: 1
; COMPUTE_PGM_RSRC2:TGID_Y_EN: 0
; COMPUTE_PGM_RSRC2:TGID_Z_EN: 0
; COMPUTE_PGM_RSRC2:TIDIG_COMP_CNT: 0
	.section	.text._ZN9rocsparseL23gebsrmvn_general_kernelILj1024ELj32EfEEvi20rocsparse_direction_NS_24const_host_device_scalarIT1_EEPKiS6_PKS3_iiS8_S4_PS3_21rocsparse_index_base_b,"axG",@progbits,_ZN9rocsparseL23gebsrmvn_general_kernelILj1024ELj32EfEEvi20rocsparse_direction_NS_24const_host_device_scalarIT1_EEPKiS6_PKS3_iiS8_S4_PS3_21rocsparse_index_base_b,comdat
	.globl	_ZN9rocsparseL23gebsrmvn_general_kernelILj1024ELj32EfEEvi20rocsparse_direction_NS_24const_host_device_scalarIT1_EEPKiS6_PKS3_iiS8_S4_PS3_21rocsparse_index_base_b ; -- Begin function _ZN9rocsparseL23gebsrmvn_general_kernelILj1024ELj32EfEEvi20rocsparse_direction_NS_24const_host_device_scalarIT1_EEPKiS6_PKS3_iiS8_S4_PS3_21rocsparse_index_base_b
	.p2align	8
	.type	_ZN9rocsparseL23gebsrmvn_general_kernelILj1024ELj32EfEEvi20rocsparse_direction_NS_24const_host_device_scalarIT1_EEPKiS6_PKS3_iiS8_S4_PS3_21rocsparse_index_base_b,@function
_ZN9rocsparseL23gebsrmvn_general_kernelILj1024ELj32EfEEvi20rocsparse_direction_NS_24const_host_device_scalarIT1_EEPKiS6_PKS3_iiS8_S4_PS3_21rocsparse_index_base_b: ; @_ZN9rocsparseL23gebsrmvn_general_kernelILj1024ELj32EfEEvi20rocsparse_direction_NS_24const_host_device_scalarIT1_EEPKiS6_PKS3_iiS8_S4_PS3_21rocsparse_index_base_b
; %bb.0:
	s_clause 0x2
	s_load_dwordx2 s[8:9], s[4:5], 0x48
	s_load_dwordx2 s[10:11], s[4:5], 0x8
	;; [unrolled: 1-line block ×3, first 2 shown]
	s_waitcnt lgkmcnt(0)
	s_bitcmp1_b32 s9, 0
	s_cselect_b32 s0, -1, 0
	s_and_b32 vcc_lo, exec_lo, s0
	s_xor_b32 s0, s0, -1
	s_cbranch_vccnz .LBB4_2
; %bb.1:
	s_load_dword s10, s[10:11], 0x0
.LBB4_2:
	s_andn2_b32 vcc_lo, exec_lo, s0
	s_cbranch_vccnz .LBB4_4
; %bb.3:
	s_load_dword s12, s[12:13], 0x0
.LBB4_4:
	s_waitcnt lgkmcnt(0)
	v_cmp_eq_f32_e64 s0, s10, 0
	v_cmp_eq_f32_e64 s1, s12, 1.0
	s_and_b32 s0, s0, s1
	s_and_b32 vcc_lo, exec_lo, s0
	s_cbranch_vccnz .LBB4_24
; %bb.5:
	s_load_dwordx2 s[14:15], s[4:5], 0x28
	v_lshrrev_b32_e32 v1, 5, v0
	s_mov_b32 s0, exec_lo
	s_waitcnt lgkmcnt(0)
	v_cmpx_gt_i32_e64 s14, v1
	s_cbranch_execz .LBB4_24
; %bb.6:
	s_load_dwordx4 s[0:3], s[4:5], 0x10
	s_ashr_i32 s7, s6, 31
	v_mbcnt_lo_u32_b32 v4, -1, 0
	s_lshl_b64 s[16:17], s[6:7], 2
	s_load_dword s7, s[4:5], 0x4
	v_and_b32_e32 v0, 31, v0
	v_cmp_eq_f32_e64 s22, s12, 0
	v_xor_b32_e32 v2, 16, v4
	v_xor_b32_e32 v3, 8, v4
	;; [unrolled: 1-line block ×5, first 2 shown]
	v_cmp_gt_i32_e32 vcc_lo, 32, v2
	s_mov_b32 s9, 0
	s_mul_i32 s23, s14, s6
	s_mul_i32 s25, s15, s14
	v_cndmask_b32_e32 v8, v4, v2, vcc_lo
	v_cmp_gt_i32_e32 vcc_lo, 32, v3
	s_waitcnt lgkmcnt(0)
	s_add_u32 s0, s0, s16
	s_addc_u32 s1, s1, s17
	v_cndmask_b32_e32 v9, v4, v3, vcc_lo
	s_load_dwordx2 s[20:21], s[0:1], 0x0
	v_cmp_gt_i32_e32 vcc_lo, 32, v5
	s_clause 0x2
	s_load_dwordx2 s[16:17], s[4:5], 0x20
	s_load_dwordx2 s[18:19], s[4:5], 0x30
	;; [unrolled: 1-line block ×3, first 2 shown]
	v_cmp_gt_i32_e64 s0, s15, v0
	v_cmp_eq_u32_e64 s1, 31, v0
	v_cndmask_b32_e32 v10, v4, v5, vcc_lo
	v_cmp_gt_i32_e32 vcc_lo, 32, v6
	v_lshlrev_b32_e32 v5, 2, v9
	v_cndmask_b32_e32 v11, v4, v6, vcc_lo
	v_cmp_gt_i32_e32 vcc_lo, 32, v7
	v_lshlrev_b32_e32 v6, 2, v10
	s_waitcnt lgkmcnt(0)
	s_sub_i32 s11, s20, s8
	s_sub_i32 s13, s21, s8
	v_mad_u64_u32 v[2:3], null, s14, s11, v[1:2]
	v_cndmask_b32_e32 v3, v4, v7, vcc_lo
	s_cmp_lt_i32 s20, s21
	v_lshlrev_b32_e32 v4, 2, v8
	v_lshlrev_b32_e32 v7, 2, v11
	s_cselect_b32 s20, -1, 0
	v_lshlrev_b32_e32 v8, 2, v3
	v_mul_lo_u32 v9, s15, v2
	s_cmp_lg_u32 s7, 0
	s_cselect_b32 s21, -1, 0
	s_lshl_b32 s24, s15, 5
	s_branch .LBB4_8
.LBB4_7:                                ;   in Loop: Header=BB4_8 Depth=1
	s_or_b32 exec_lo, exec_lo, s6
	v_add_nc_u32_e32 v1, 32, v1
	v_add_nc_u32_e32 v9, s24, v9
	v_cmp_le_i32_e32 vcc_lo, s14, v1
	s_or_b32 s9, vcc_lo, s9
	s_andn2_b32 exec_lo, exec_lo, s9
	s_cbranch_execz .LBB4_24
.LBB4_8:                                ; =>This Loop Header: Depth=1
                                        ;     Child Loop BB4_12 Depth 2
                                        ;       Child Loop BB4_15 Depth 3
	v_mov_b32_e32 v10, 0
	s_andn2_b32 vcc_lo, exec_lo, s20
	s_cbranch_vccnz .LBB4_19
; %bb.9:                                ;   in Loop: Header=BB4_8 Depth=1
	v_mov_b32_e32 v10, 0
	v_mov_b32_e32 v11, v9
	s_mov_b32 s6, s11
	s_branch .LBB4_12
.LBB4_10:                               ;   in Loop: Header=BB4_12 Depth=2
	s_inst_prefetch 0x2
	s_or_b32 exec_lo, exec_lo, s27
.LBB4_11:                               ;   in Loop: Header=BB4_12 Depth=2
	s_or_b32 exec_lo, exec_lo, s26
	v_add_nc_u32_e32 v11, s25, v11
	s_add_i32 s6, s6, 1
	s_cmp_ge_i32 s6, s13
	s_cbranch_scc1 .LBB4_19
.LBB4_12:                               ;   Parent Loop BB4_8 Depth=1
                                        ; =>  This Loop Header: Depth=2
                                        ;       Child Loop BB4_15 Depth 3
	s_and_saveexec_b32 s26, s0
	s_cbranch_execz .LBB4_11
; %bb.13:                               ;   in Loop: Header=BB4_12 Depth=2
	s_ashr_i32 s7, s6, 31
	v_mov_b32_e32 v12, v0
	s_lshl_b64 s[28:29], s[6:7], 2
	s_mov_b32 s27, 0
	s_add_u32 s28, s2, s28
	s_addc_u32 s29, s3, s29
	s_load_dword s7, s[28:29], 0x0
	s_waitcnt lgkmcnt(0)
	s_sub_i32 s28, s7, s8
	s_mul_i32 s7, s6, s15
	s_mul_i32 s28, s28, s15
	s_inst_prefetch 0x1
	s_branch .LBB4_15
	.p2align	6
.LBB4_14:                               ;   in Loop: Header=BB4_15 Depth=3
	v_add_nc_u32_e32 v13, s28, v12
	v_ashrrev_i32_e32 v3, 31, v2
	v_add_nc_u32_e32 v12, 32, v12
	v_ashrrev_i32_e32 v14, 31, v13
	v_lshlrev_b64 v[2:3], 2, v[2:3]
	v_lshlrev_b64 v[13:14], 2, v[13:14]
	v_add_co_u32 v2, vcc_lo, s16, v2
	v_add_co_ci_u32_e64 v3, null, s17, v3, vcc_lo
	v_add_co_u32 v13, vcc_lo, s18, v13
	v_add_co_ci_u32_e64 v14, null, s19, v14, vcc_lo
	v_cmp_le_i32_e32 vcc_lo, s15, v12
	global_load_dword v2, v[2:3], off
	global_load_dword v3, v[13:14], off
	s_or_b32 s27, vcc_lo, s27
	s_waitcnt vmcnt(0)
	v_fmac_f32_e32 v10, v2, v3
	s_andn2_b32 exec_lo, exec_lo, s27
	s_cbranch_execz .LBB4_10
.LBB4_15:                               ;   Parent Loop BB4_8 Depth=1
                                        ;     Parent Loop BB4_12 Depth=2
                                        ; =>    This Inner Loop Header: Depth=3
	s_and_b32 vcc_lo, exec_lo, s21
	s_cbranch_vccz .LBB4_17
; %bb.16:                               ;   in Loop: Header=BB4_15 Depth=3
	v_add_nc_u32_e32 v2, s7, v12
	v_mad_u64_u32 v[2:3], null, v2, s14, v[1:2]
	s_cbranch_execnz .LBB4_14
	s_branch .LBB4_18
	.p2align	6
.LBB4_17:                               ;   in Loop: Header=BB4_15 Depth=3
                                        ; implicit-def: $vgpr2
.LBB4_18:                               ;   in Loop: Header=BB4_15 Depth=3
	v_add_nc_u32_e32 v2, v11, v12
	s_branch .LBB4_14
.LBB4_19:                               ;   in Loop: Header=BB4_8 Depth=1
	ds_bpermute_b32 v2, v4, v10
	s_waitcnt lgkmcnt(0)
	v_add_f32_e32 v2, v10, v2
	ds_bpermute_b32 v3, v5, v2
	s_waitcnt lgkmcnt(0)
	v_add_f32_e32 v2, v2, v3
	;; [unrolled: 3-line block ×4, first 2 shown]
	ds_bpermute_b32 v3, v8, v2
	s_and_saveexec_b32 s6, s1
	s_cbranch_execz .LBB4_7
; %bb.20:                               ;   in Loop: Header=BB4_8 Depth=1
	s_waitcnt lgkmcnt(0)
	v_add_f32_e32 v3, v2, v3
	v_add_nc_u32_e32 v2, s23, v1
	s_and_b32 vcc_lo, exec_lo, s22
	v_mul_f32_e32 v10, s10, v3
	v_ashrrev_i32_e32 v3, 31, v2
	s_cbranch_vccz .LBB4_22
; %bb.21:                               ;   in Loop: Header=BB4_8 Depth=1
	v_lshlrev_b64 v[11:12], 2, v[2:3]
	v_add_co_u32 v11, vcc_lo, s4, v11
	v_add_co_ci_u32_e64 v12, null, s5, v12, vcc_lo
	global_store_dword v[11:12], v10, off
	s_cbranch_execnz .LBB4_7
	s_branch .LBB4_23
.LBB4_22:                               ;   in Loop: Header=BB4_8 Depth=1
.LBB4_23:                               ;   in Loop: Header=BB4_8 Depth=1
	v_lshlrev_b64 v[2:3], 2, v[2:3]
	v_add_co_u32 v2, vcc_lo, s4, v2
	v_add_co_ci_u32_e64 v3, null, s5, v3, vcc_lo
	global_load_dword v11, v[2:3], off
	s_waitcnt vmcnt(0)
	v_fmac_f32_e32 v10, s12, v11
	global_store_dword v[2:3], v10, off
	s_branch .LBB4_7
.LBB4_24:
	s_endpgm
	.section	.rodata,"a",@progbits
	.p2align	6, 0x0
	.amdhsa_kernel _ZN9rocsparseL23gebsrmvn_general_kernelILj1024ELj32EfEEvi20rocsparse_direction_NS_24const_host_device_scalarIT1_EEPKiS6_PKS3_iiS8_S4_PS3_21rocsparse_index_base_b
		.amdhsa_group_segment_fixed_size 0
		.amdhsa_private_segment_fixed_size 0
		.amdhsa_kernarg_size 80
		.amdhsa_user_sgpr_count 6
		.amdhsa_user_sgpr_private_segment_buffer 1
		.amdhsa_user_sgpr_dispatch_ptr 0
		.amdhsa_user_sgpr_queue_ptr 0
		.amdhsa_user_sgpr_kernarg_segment_ptr 1
		.amdhsa_user_sgpr_dispatch_id 0
		.amdhsa_user_sgpr_flat_scratch_init 0
		.amdhsa_user_sgpr_private_segment_size 0
		.amdhsa_wavefront_size32 1
		.amdhsa_uses_dynamic_stack 0
		.amdhsa_system_sgpr_private_segment_wavefront_offset 0
		.amdhsa_system_sgpr_workgroup_id_x 1
		.amdhsa_system_sgpr_workgroup_id_y 0
		.amdhsa_system_sgpr_workgroup_id_z 0
		.amdhsa_system_sgpr_workgroup_info 0
		.amdhsa_system_vgpr_workitem_id 0
		.amdhsa_next_free_vgpr 15
		.amdhsa_next_free_sgpr 30
		.amdhsa_reserve_vcc 1
		.amdhsa_reserve_flat_scratch 0
		.amdhsa_float_round_mode_32 0
		.amdhsa_float_round_mode_16_64 0
		.amdhsa_float_denorm_mode_32 3
		.amdhsa_float_denorm_mode_16_64 3
		.amdhsa_dx10_clamp 1
		.amdhsa_ieee_mode 1
		.amdhsa_fp16_overflow 0
		.amdhsa_workgroup_processor_mode 1
		.amdhsa_memory_ordered 1
		.amdhsa_forward_progress 1
		.amdhsa_shared_vgpr_count 0
		.amdhsa_exception_fp_ieee_invalid_op 0
		.amdhsa_exception_fp_denorm_src 0
		.amdhsa_exception_fp_ieee_div_zero 0
		.amdhsa_exception_fp_ieee_overflow 0
		.amdhsa_exception_fp_ieee_underflow 0
		.amdhsa_exception_fp_ieee_inexact 0
		.amdhsa_exception_int_div_zero 0
	.end_amdhsa_kernel
	.section	.text._ZN9rocsparseL23gebsrmvn_general_kernelILj1024ELj32EfEEvi20rocsparse_direction_NS_24const_host_device_scalarIT1_EEPKiS6_PKS3_iiS8_S4_PS3_21rocsparse_index_base_b,"axG",@progbits,_ZN9rocsparseL23gebsrmvn_general_kernelILj1024ELj32EfEEvi20rocsparse_direction_NS_24const_host_device_scalarIT1_EEPKiS6_PKS3_iiS8_S4_PS3_21rocsparse_index_base_b,comdat
.Lfunc_end4:
	.size	_ZN9rocsparseL23gebsrmvn_general_kernelILj1024ELj32EfEEvi20rocsparse_direction_NS_24const_host_device_scalarIT1_EEPKiS6_PKS3_iiS8_S4_PS3_21rocsparse_index_base_b, .Lfunc_end4-_ZN9rocsparseL23gebsrmvn_general_kernelILj1024ELj32EfEEvi20rocsparse_direction_NS_24const_host_device_scalarIT1_EEPKiS6_PKS3_iiS8_S4_PS3_21rocsparse_index_base_b
                                        ; -- End function
	.set _ZN9rocsparseL23gebsrmvn_general_kernelILj1024ELj32EfEEvi20rocsparse_direction_NS_24const_host_device_scalarIT1_EEPKiS6_PKS3_iiS8_S4_PS3_21rocsparse_index_base_b.num_vgpr, 15
	.set _ZN9rocsparseL23gebsrmvn_general_kernelILj1024ELj32EfEEvi20rocsparse_direction_NS_24const_host_device_scalarIT1_EEPKiS6_PKS3_iiS8_S4_PS3_21rocsparse_index_base_b.num_agpr, 0
	.set _ZN9rocsparseL23gebsrmvn_general_kernelILj1024ELj32EfEEvi20rocsparse_direction_NS_24const_host_device_scalarIT1_EEPKiS6_PKS3_iiS8_S4_PS3_21rocsparse_index_base_b.numbered_sgpr, 30
	.set _ZN9rocsparseL23gebsrmvn_general_kernelILj1024ELj32EfEEvi20rocsparse_direction_NS_24const_host_device_scalarIT1_EEPKiS6_PKS3_iiS8_S4_PS3_21rocsparse_index_base_b.num_named_barrier, 0
	.set _ZN9rocsparseL23gebsrmvn_general_kernelILj1024ELj32EfEEvi20rocsparse_direction_NS_24const_host_device_scalarIT1_EEPKiS6_PKS3_iiS8_S4_PS3_21rocsparse_index_base_b.private_seg_size, 0
	.set _ZN9rocsparseL23gebsrmvn_general_kernelILj1024ELj32EfEEvi20rocsparse_direction_NS_24const_host_device_scalarIT1_EEPKiS6_PKS3_iiS8_S4_PS3_21rocsparse_index_base_b.uses_vcc, 1
	.set _ZN9rocsparseL23gebsrmvn_general_kernelILj1024ELj32EfEEvi20rocsparse_direction_NS_24const_host_device_scalarIT1_EEPKiS6_PKS3_iiS8_S4_PS3_21rocsparse_index_base_b.uses_flat_scratch, 0
	.set _ZN9rocsparseL23gebsrmvn_general_kernelILj1024ELj32EfEEvi20rocsparse_direction_NS_24const_host_device_scalarIT1_EEPKiS6_PKS3_iiS8_S4_PS3_21rocsparse_index_base_b.has_dyn_sized_stack, 0
	.set _ZN9rocsparseL23gebsrmvn_general_kernelILj1024ELj32EfEEvi20rocsparse_direction_NS_24const_host_device_scalarIT1_EEPKiS6_PKS3_iiS8_S4_PS3_21rocsparse_index_base_b.has_recursion, 0
	.set _ZN9rocsparseL23gebsrmvn_general_kernelILj1024ELj32EfEEvi20rocsparse_direction_NS_24const_host_device_scalarIT1_EEPKiS6_PKS3_iiS8_S4_PS3_21rocsparse_index_base_b.has_indirect_call, 0
	.section	.AMDGPU.csdata,"",@progbits
; Kernel info:
; codeLenInByte = 980
; TotalNumSgprs: 32
; NumVgprs: 15
; ScratchSize: 0
; MemoryBound: 0
; FloatMode: 240
; IeeeMode: 1
; LDSByteSize: 0 bytes/workgroup (compile time only)
; SGPRBlocks: 0
; VGPRBlocks: 1
; NumSGPRsForWavesPerEU: 32
; NumVGPRsForWavesPerEU: 15
; Occupancy: 16
; WaveLimiterHint : 1
; COMPUTE_PGM_RSRC2:SCRATCH_EN: 0
; COMPUTE_PGM_RSRC2:USER_SGPR: 6
; COMPUTE_PGM_RSRC2:TRAP_HANDLER: 0
; COMPUTE_PGM_RSRC2:TGID_X_EN: 1
; COMPUTE_PGM_RSRC2:TGID_Y_EN: 0
; COMPUTE_PGM_RSRC2:TGID_Z_EN: 0
; COMPUTE_PGM_RSRC2:TIDIG_COMP_CNT: 0
	.section	.text._ZN9rocsparseL23gebsrmvn_general_kernelILj64ELj2EdEEvi20rocsparse_direction_NS_24const_host_device_scalarIT1_EEPKiS6_PKS3_iiS8_S4_PS3_21rocsparse_index_base_b,"axG",@progbits,_ZN9rocsparseL23gebsrmvn_general_kernelILj64ELj2EdEEvi20rocsparse_direction_NS_24const_host_device_scalarIT1_EEPKiS6_PKS3_iiS8_S4_PS3_21rocsparse_index_base_b,comdat
	.globl	_ZN9rocsparseL23gebsrmvn_general_kernelILj64ELj2EdEEvi20rocsparse_direction_NS_24const_host_device_scalarIT1_EEPKiS6_PKS3_iiS8_S4_PS3_21rocsparse_index_base_b ; -- Begin function _ZN9rocsparseL23gebsrmvn_general_kernelILj64ELj2EdEEvi20rocsparse_direction_NS_24const_host_device_scalarIT1_EEPKiS6_PKS3_iiS8_S4_PS3_21rocsparse_index_base_b
	.p2align	8
	.type	_ZN9rocsparseL23gebsrmvn_general_kernelILj64ELj2EdEEvi20rocsparse_direction_NS_24const_host_device_scalarIT1_EEPKiS6_PKS3_iiS8_S4_PS3_21rocsparse_index_base_b,@function
_ZN9rocsparseL23gebsrmvn_general_kernelILj64ELj2EdEEvi20rocsparse_direction_NS_24const_host_device_scalarIT1_EEPKiS6_PKS3_iiS8_S4_PS3_21rocsparse_index_base_b: ; @_ZN9rocsparseL23gebsrmvn_general_kernelILj64ELj2EdEEvi20rocsparse_direction_NS_24const_host_device_scalarIT1_EEPKiS6_PKS3_iiS8_S4_PS3_21rocsparse_index_base_b
; %bb.0:
	s_clause 0x2
	s_load_dwordx2 s[12:13], s[4:5], 0x48
	s_load_dwordx2 s[2:3], s[4:5], 0x8
	;; [unrolled: 1-line block ×3, first 2 shown]
	s_waitcnt lgkmcnt(0)
	s_bitcmp1_b32 s13, 0
	v_mov_b32_e32 v1, s2
	v_mov_b32_e32 v2, s3
	s_cselect_b32 s7, -1, 0
	s_and_b32 vcc_lo, exec_lo, s7
	s_xor_b32 s7, s7, -1
	s_cbranch_vccnz .LBB5_2
; %bb.1:
	v_mov_b32_e32 v1, s2
	v_mov_b32_e32 v2, s3
	flat_load_dwordx2 v[1:2], v[1:2]
.LBB5_2:
	v_mov_b32_e32 v4, s1
	v_mov_b32_e32 v3, s0
	s_andn2_b32 vcc_lo, exec_lo, s7
	s_cbranch_vccnz .LBB5_4
; %bb.3:
	v_mov_b32_e32 v4, s1
	v_mov_b32_e32 v3, s0
	flat_load_dwordx2 v[3:4], v[3:4]
.LBB5_4:
	s_waitcnt vmcnt(0) lgkmcnt(0)
	v_cmp_neq_f64_e32 vcc_lo, 0, v[1:2]
	v_cmp_neq_f64_e64 s0, 1.0, v[3:4]
	s_or_b32 s0, vcc_lo, s0
	s_and_saveexec_b32 s1, s0
	s_cbranch_execz .LBB5_24
; %bb.5:
	s_load_dwordx2 s[14:15], s[4:5], 0x28
	v_lshrrev_b32_e32 v5, 1, v0
	s_waitcnt lgkmcnt(0)
	v_cmp_gt_i32_e32 vcc_lo, s14, v5
	s_and_b32 exec_lo, exec_lo, vcc_lo
	s_cbranch_execz .LBB5_24
; %bb.6:
	s_clause 0x1
	s_load_dwordx4 s[8:11], s[4:5], 0x10
	s_load_dword s2, s[4:5], 0x4
	s_ashr_i32 s7, s6, 31
	v_mbcnt_lo_u32_b32 v8, -1, 0
	s_lshl_b64 s[0:1], s[6:7], 2
	v_and_b32_e32 v0, 1, v0
	s_mul_i32 s21, s14, s6
	s_mul_i32 s23, s15, s14
	v_xor_b32_e32 v9, 1, v8
	v_cmp_gt_i32_e32 vcc_lo, 32, v9
	s_waitcnt lgkmcnt(0)
	s_add_u32 s0, s8, s0
	s_addc_u32 s1, s9, s1
	s_load_dwordx2 s[18:19], s[0:1], 0x0
	v_cmp_eq_f64_e64 s0, 0, v[3:4]
	s_clause 0x2
	s_load_dwordx2 s[8:9], s[4:5], 0x20
	s_load_dwordx2 s[16:17], s[4:5], 0x30
	;; [unrolled: 1-line block ×3, first 2 shown]
	v_cmp_gt_i32_e64 s1, s15, v0
	s_waitcnt lgkmcnt(0)
	s_sub_i32 s3, s18, s12
	s_sub_i32 s13, s19, s12
	v_mad_u64_u32 v[6:7], null, s14, s3, v[5:6]
	v_cndmask_b32_e32 v7, v8, v9, vcc_lo
	s_cmp_lt_i32 s18, s19
	s_mov_b32 s19, 0
	s_cselect_b32 s18, -1, 0
	s_cmp_lg_u32 s2, 0
	v_lshlrev_b32_e32 v11, 2, v7
	v_mul_lo_u32 v10, s15, v6
	v_cmp_eq_u32_e64 s2, 1, v0
	s_cselect_b32 s20, -1, 0
	s_lshl_b32 s22, s15, 5
	s_branch .LBB5_8
.LBB5_7:                                ;   in Loop: Header=BB5_8 Depth=1
	s_or_b32 exec_lo, exec_lo, s6
	v_add_nc_u32_e32 v5, 32, v5
	v_add_nc_u32_e32 v10, s22, v10
	v_cmp_le_i32_e32 vcc_lo, s14, v5
	s_or_b32 s19, vcc_lo, s19
	s_andn2_b32 exec_lo, exec_lo, s19
	s_cbranch_execz .LBB5_24
.LBB5_8:                                ; =>This Loop Header: Depth=1
                                        ;     Child Loop BB5_12 Depth 2
                                        ;       Child Loop BB5_15 Depth 3
	v_mov_b32_e32 v6, 0
	v_mov_b32_e32 v7, 0
	s_andn2_b32 vcc_lo, exec_lo, s18
	s_cbranch_vccnz .LBB5_19
; %bb.9:                                ;   in Loop: Header=BB5_8 Depth=1
	v_mov_b32_e32 v6, 0
	v_mov_b32_e32 v7, 0
	;; [unrolled: 1-line block ×3, first 2 shown]
	s_mov_b32 s6, s3
	s_branch .LBB5_12
.LBB5_10:                               ;   in Loop: Header=BB5_12 Depth=2
	s_inst_prefetch 0x2
	s_or_b32 exec_lo, exec_lo, s25
.LBB5_11:                               ;   in Loop: Header=BB5_12 Depth=2
	s_or_b32 exec_lo, exec_lo, s24
	v_add_nc_u32_e32 v12, s23, v12
	s_add_i32 s6, s6, 1
	s_cmp_ge_i32 s6, s13
	s_cbranch_scc1 .LBB5_19
.LBB5_12:                               ;   Parent Loop BB5_8 Depth=1
                                        ; =>  This Loop Header: Depth=2
                                        ;       Child Loop BB5_15 Depth 3
	s_and_saveexec_b32 s24, s1
	s_cbranch_execz .LBB5_11
; %bb.13:                               ;   in Loop: Header=BB5_12 Depth=2
	s_ashr_i32 s7, s6, 31
	v_mov_b32_e32 v13, v0
	s_lshl_b64 s[26:27], s[6:7], 2
	s_mov_b32 s25, 0
	s_add_u32 s26, s10, s26
	s_addc_u32 s27, s11, s27
	s_load_dword s7, s[26:27], 0x0
	s_waitcnt lgkmcnt(0)
	s_sub_i32 s26, s7, s12
	s_mul_i32 s7, s6, s15
	s_mul_i32 s26, s26, s15
	s_inst_prefetch 0x1
	s_branch .LBB5_15
	.p2align	6
.LBB5_14:                               ;   in Loop: Header=BB5_15 Depth=3
	v_add_nc_u32_e32 v14, s26, v13
	v_ashrrev_i32_e32 v9, 31, v8
	v_add_nc_u32_e32 v13, 2, v13
	v_ashrrev_i32_e32 v15, 31, v14
	v_lshlrev_b64 v[8:9], 3, v[8:9]
	v_lshlrev_b64 v[14:15], 3, v[14:15]
	v_add_co_u32 v8, vcc_lo, s8, v8
	v_add_co_ci_u32_e64 v9, null, s9, v9, vcc_lo
	v_add_co_u32 v14, vcc_lo, s16, v14
	v_add_co_ci_u32_e64 v15, null, s17, v15, vcc_lo
	v_cmp_le_i32_e32 vcc_lo, s15, v13
	global_load_dwordx2 v[8:9], v[8:9], off
	global_load_dwordx2 v[14:15], v[14:15], off
	s_or_b32 s25, vcc_lo, s25
	s_waitcnt vmcnt(0)
	v_fma_f64 v[6:7], v[8:9], v[14:15], v[6:7]
	s_andn2_b32 exec_lo, exec_lo, s25
	s_cbranch_execz .LBB5_10
.LBB5_15:                               ;   Parent Loop BB5_8 Depth=1
                                        ;     Parent Loop BB5_12 Depth=2
                                        ; =>    This Inner Loop Header: Depth=3
	s_and_b32 vcc_lo, exec_lo, s20
	s_cbranch_vccz .LBB5_17
; %bb.16:                               ;   in Loop: Header=BB5_15 Depth=3
	v_add_nc_u32_e32 v8, s7, v13
	v_mad_u64_u32 v[8:9], null, v8, s14, v[5:6]
	s_cbranch_execnz .LBB5_14
	s_branch .LBB5_18
	.p2align	6
.LBB5_17:                               ;   in Loop: Header=BB5_15 Depth=3
                                        ; implicit-def: $vgpr8
.LBB5_18:                               ;   in Loop: Header=BB5_15 Depth=3
	v_add_nc_u32_e32 v8, v12, v13
	s_branch .LBB5_14
.LBB5_19:                               ;   in Loop: Header=BB5_8 Depth=1
	s_waitcnt lgkmcnt(1)
	ds_bpermute_b32 v8, v11, v6
	s_waitcnt lgkmcnt(1)
	ds_bpermute_b32 v9, v11, v7
	s_and_saveexec_b32 s6, s2
	s_cbranch_execz .LBB5_7
; %bb.20:                               ;   in Loop: Header=BB5_8 Depth=1
	s_waitcnt lgkmcnt(0)
	v_add_f64 v[6:7], v[6:7], v[8:9]
	v_add_nc_u32_e32 v8, s21, v5
	v_ashrrev_i32_e32 v9, 31, v8
	v_mul_f64 v[6:7], v[1:2], v[6:7]
	s_and_saveexec_b32 s7, s0
	s_xor_b32 s7, exec_lo, s7
	s_cbranch_execz .LBB5_22
; %bb.21:                               ;   in Loop: Header=BB5_8 Depth=1
	v_lshlrev_b64 v[8:9], 3, v[8:9]
	v_add_co_u32 v8, vcc_lo, s4, v8
	v_add_co_ci_u32_e64 v9, null, s5, v9, vcc_lo
	global_store_dwordx2 v[8:9], v[6:7], off
                                        ; implicit-def: $vgpr8
                                        ; implicit-def: $vgpr6_vgpr7
.LBB5_22:                               ;   in Loop: Header=BB5_8 Depth=1
	s_andn2_saveexec_b32 s7, s7
	s_cbranch_execz .LBB5_7
; %bb.23:                               ;   in Loop: Header=BB5_8 Depth=1
	v_lshlrev_b64 v[8:9], 3, v[8:9]
	v_add_co_u32 v8, vcc_lo, s4, v8
	v_add_co_ci_u32_e64 v9, null, s5, v9, vcc_lo
	global_load_dwordx2 v[12:13], v[8:9], off
	s_waitcnt vmcnt(0)
	v_fma_f64 v[6:7], v[3:4], v[12:13], v[6:7]
	global_store_dwordx2 v[8:9], v[6:7], off
	s_branch .LBB5_7
.LBB5_24:
	s_endpgm
	.section	.rodata,"a",@progbits
	.p2align	6, 0x0
	.amdhsa_kernel _ZN9rocsparseL23gebsrmvn_general_kernelILj64ELj2EdEEvi20rocsparse_direction_NS_24const_host_device_scalarIT1_EEPKiS6_PKS3_iiS8_S4_PS3_21rocsparse_index_base_b
		.amdhsa_group_segment_fixed_size 0
		.amdhsa_private_segment_fixed_size 0
		.amdhsa_kernarg_size 80
		.amdhsa_user_sgpr_count 6
		.amdhsa_user_sgpr_private_segment_buffer 1
		.amdhsa_user_sgpr_dispatch_ptr 0
		.amdhsa_user_sgpr_queue_ptr 0
		.amdhsa_user_sgpr_kernarg_segment_ptr 1
		.amdhsa_user_sgpr_dispatch_id 0
		.amdhsa_user_sgpr_flat_scratch_init 0
		.amdhsa_user_sgpr_private_segment_size 0
		.amdhsa_wavefront_size32 1
		.amdhsa_uses_dynamic_stack 0
		.amdhsa_system_sgpr_private_segment_wavefront_offset 0
		.amdhsa_system_sgpr_workgroup_id_x 1
		.amdhsa_system_sgpr_workgroup_id_y 0
		.amdhsa_system_sgpr_workgroup_id_z 0
		.amdhsa_system_sgpr_workgroup_info 0
		.amdhsa_system_vgpr_workitem_id 0
		.amdhsa_next_free_vgpr 16
		.amdhsa_next_free_sgpr 28
		.amdhsa_reserve_vcc 1
		.amdhsa_reserve_flat_scratch 0
		.amdhsa_float_round_mode_32 0
		.amdhsa_float_round_mode_16_64 0
		.amdhsa_float_denorm_mode_32 3
		.amdhsa_float_denorm_mode_16_64 3
		.amdhsa_dx10_clamp 1
		.amdhsa_ieee_mode 1
		.amdhsa_fp16_overflow 0
		.amdhsa_workgroup_processor_mode 1
		.amdhsa_memory_ordered 1
		.amdhsa_forward_progress 1
		.amdhsa_shared_vgpr_count 0
		.amdhsa_exception_fp_ieee_invalid_op 0
		.amdhsa_exception_fp_denorm_src 0
		.amdhsa_exception_fp_ieee_div_zero 0
		.amdhsa_exception_fp_ieee_overflow 0
		.amdhsa_exception_fp_ieee_underflow 0
		.amdhsa_exception_fp_ieee_inexact 0
		.amdhsa_exception_int_div_zero 0
	.end_amdhsa_kernel
	.section	.text._ZN9rocsparseL23gebsrmvn_general_kernelILj64ELj2EdEEvi20rocsparse_direction_NS_24const_host_device_scalarIT1_EEPKiS6_PKS3_iiS8_S4_PS3_21rocsparse_index_base_b,"axG",@progbits,_ZN9rocsparseL23gebsrmvn_general_kernelILj64ELj2EdEEvi20rocsparse_direction_NS_24const_host_device_scalarIT1_EEPKiS6_PKS3_iiS8_S4_PS3_21rocsparse_index_base_b,comdat
.Lfunc_end5:
	.size	_ZN9rocsparseL23gebsrmvn_general_kernelILj64ELj2EdEEvi20rocsparse_direction_NS_24const_host_device_scalarIT1_EEPKiS6_PKS3_iiS8_S4_PS3_21rocsparse_index_base_b, .Lfunc_end5-_ZN9rocsparseL23gebsrmvn_general_kernelILj64ELj2EdEEvi20rocsparse_direction_NS_24const_host_device_scalarIT1_EEPKiS6_PKS3_iiS8_S4_PS3_21rocsparse_index_base_b
                                        ; -- End function
	.set _ZN9rocsparseL23gebsrmvn_general_kernelILj64ELj2EdEEvi20rocsparse_direction_NS_24const_host_device_scalarIT1_EEPKiS6_PKS3_iiS8_S4_PS3_21rocsparse_index_base_b.num_vgpr, 16
	.set _ZN9rocsparseL23gebsrmvn_general_kernelILj64ELj2EdEEvi20rocsparse_direction_NS_24const_host_device_scalarIT1_EEPKiS6_PKS3_iiS8_S4_PS3_21rocsparse_index_base_b.num_agpr, 0
	.set _ZN9rocsparseL23gebsrmvn_general_kernelILj64ELj2EdEEvi20rocsparse_direction_NS_24const_host_device_scalarIT1_EEPKiS6_PKS3_iiS8_S4_PS3_21rocsparse_index_base_b.numbered_sgpr, 28
	.set _ZN9rocsparseL23gebsrmvn_general_kernelILj64ELj2EdEEvi20rocsparse_direction_NS_24const_host_device_scalarIT1_EEPKiS6_PKS3_iiS8_S4_PS3_21rocsparse_index_base_b.num_named_barrier, 0
	.set _ZN9rocsparseL23gebsrmvn_general_kernelILj64ELj2EdEEvi20rocsparse_direction_NS_24const_host_device_scalarIT1_EEPKiS6_PKS3_iiS8_S4_PS3_21rocsparse_index_base_b.private_seg_size, 0
	.set _ZN9rocsparseL23gebsrmvn_general_kernelILj64ELj2EdEEvi20rocsparse_direction_NS_24const_host_device_scalarIT1_EEPKiS6_PKS3_iiS8_S4_PS3_21rocsparse_index_base_b.uses_vcc, 1
	.set _ZN9rocsparseL23gebsrmvn_general_kernelILj64ELj2EdEEvi20rocsparse_direction_NS_24const_host_device_scalarIT1_EEPKiS6_PKS3_iiS8_S4_PS3_21rocsparse_index_base_b.uses_flat_scratch, 0
	.set _ZN9rocsparseL23gebsrmvn_general_kernelILj64ELj2EdEEvi20rocsparse_direction_NS_24const_host_device_scalarIT1_EEPKiS6_PKS3_iiS8_S4_PS3_21rocsparse_index_base_b.has_dyn_sized_stack, 0
	.set _ZN9rocsparseL23gebsrmvn_general_kernelILj64ELj2EdEEvi20rocsparse_direction_NS_24const_host_device_scalarIT1_EEPKiS6_PKS3_iiS8_S4_PS3_21rocsparse_index_base_b.has_recursion, 0
	.set _ZN9rocsparseL23gebsrmvn_general_kernelILj64ELj2EdEEvi20rocsparse_direction_NS_24const_host_device_scalarIT1_EEPKiS6_PKS3_iiS8_S4_PS3_21rocsparse_index_base_b.has_indirect_call, 0
	.section	.AMDGPU.csdata,"",@progbits
; Kernel info:
; codeLenInByte = 884
; TotalNumSgprs: 30
; NumVgprs: 16
; ScratchSize: 0
; MemoryBound: 0
; FloatMode: 240
; IeeeMode: 1
; LDSByteSize: 0 bytes/workgroup (compile time only)
; SGPRBlocks: 0
; VGPRBlocks: 1
; NumSGPRsForWavesPerEU: 30
; NumVGPRsForWavesPerEU: 16
; Occupancy: 16
; WaveLimiterHint : 1
; COMPUTE_PGM_RSRC2:SCRATCH_EN: 0
; COMPUTE_PGM_RSRC2:USER_SGPR: 6
; COMPUTE_PGM_RSRC2:TRAP_HANDLER: 0
; COMPUTE_PGM_RSRC2:TGID_X_EN: 1
; COMPUTE_PGM_RSRC2:TGID_Y_EN: 0
; COMPUTE_PGM_RSRC2:TGID_Z_EN: 0
; COMPUTE_PGM_RSRC2:TIDIG_COMP_CNT: 0
	.section	.text._ZN9rocsparseL23gebsrmvn_general_kernelILj128ELj4EdEEvi20rocsparse_direction_NS_24const_host_device_scalarIT1_EEPKiS6_PKS3_iiS8_S4_PS3_21rocsparse_index_base_b,"axG",@progbits,_ZN9rocsparseL23gebsrmvn_general_kernelILj128ELj4EdEEvi20rocsparse_direction_NS_24const_host_device_scalarIT1_EEPKiS6_PKS3_iiS8_S4_PS3_21rocsparse_index_base_b,comdat
	.globl	_ZN9rocsparseL23gebsrmvn_general_kernelILj128ELj4EdEEvi20rocsparse_direction_NS_24const_host_device_scalarIT1_EEPKiS6_PKS3_iiS8_S4_PS3_21rocsparse_index_base_b ; -- Begin function _ZN9rocsparseL23gebsrmvn_general_kernelILj128ELj4EdEEvi20rocsparse_direction_NS_24const_host_device_scalarIT1_EEPKiS6_PKS3_iiS8_S4_PS3_21rocsparse_index_base_b
	.p2align	8
	.type	_ZN9rocsparseL23gebsrmvn_general_kernelILj128ELj4EdEEvi20rocsparse_direction_NS_24const_host_device_scalarIT1_EEPKiS6_PKS3_iiS8_S4_PS3_21rocsparse_index_base_b,@function
_ZN9rocsparseL23gebsrmvn_general_kernelILj128ELj4EdEEvi20rocsparse_direction_NS_24const_host_device_scalarIT1_EEPKiS6_PKS3_iiS8_S4_PS3_21rocsparse_index_base_b: ; @_ZN9rocsparseL23gebsrmvn_general_kernelILj128ELj4EdEEvi20rocsparse_direction_NS_24const_host_device_scalarIT1_EEPKiS6_PKS3_iiS8_S4_PS3_21rocsparse_index_base_b
; %bb.0:
	s_clause 0x2
	s_load_dwordx2 s[12:13], s[4:5], 0x48
	s_load_dwordx2 s[2:3], s[4:5], 0x8
	;; [unrolled: 1-line block ×3, first 2 shown]
	s_waitcnt lgkmcnt(0)
	s_bitcmp1_b32 s13, 0
	v_mov_b32_e32 v1, s2
	v_mov_b32_e32 v2, s3
	s_cselect_b32 s7, -1, 0
	s_and_b32 vcc_lo, exec_lo, s7
	s_xor_b32 s7, s7, -1
	s_cbranch_vccnz .LBB6_2
; %bb.1:
	v_mov_b32_e32 v1, s2
	v_mov_b32_e32 v2, s3
	flat_load_dwordx2 v[1:2], v[1:2]
.LBB6_2:
	v_mov_b32_e32 v4, s1
	v_mov_b32_e32 v3, s0
	s_andn2_b32 vcc_lo, exec_lo, s7
	s_cbranch_vccnz .LBB6_4
; %bb.3:
	v_mov_b32_e32 v4, s1
	v_mov_b32_e32 v3, s0
	flat_load_dwordx2 v[3:4], v[3:4]
.LBB6_4:
	s_waitcnt vmcnt(0) lgkmcnt(0)
	v_cmp_neq_f64_e32 vcc_lo, 0, v[1:2]
	v_cmp_neq_f64_e64 s0, 1.0, v[3:4]
	s_or_b32 s0, vcc_lo, s0
	s_and_saveexec_b32 s1, s0
	s_cbranch_execz .LBB6_24
; %bb.5:
	s_load_dwordx2 s[14:15], s[4:5], 0x28
	v_lshrrev_b32_e32 v5, 2, v0
	s_waitcnt lgkmcnt(0)
	v_cmp_gt_i32_e32 vcc_lo, s14, v5
	s_and_b32 exec_lo, exec_lo, vcc_lo
	s_cbranch_execz .LBB6_24
; %bb.6:
	s_clause 0x1
	s_load_dwordx4 s[8:11], s[4:5], 0x10
	s_load_dword s2, s[4:5], 0x4
	s_ashr_i32 s7, s6, 31
	v_mbcnt_lo_u32_b32 v8, -1, 0
	s_lshl_b64 s[0:1], s[6:7], 2
	v_and_b32_e32 v0, 3, v0
	s_mul_i32 s21, s14, s6
	s_mul_i32 s23, s15, s14
	v_xor_b32_e32 v9, 2, v8
	v_xor_b32_e32 v10, 1, v8
	v_cmp_gt_i32_e32 vcc_lo, 32, v9
	s_waitcnt lgkmcnt(0)
	s_add_u32 s0, s8, s0
	s_addc_u32 s1, s9, s1
	s_load_dwordx2 s[18:19], s[0:1], 0x0
	v_cmp_eq_f64_e64 s0, 0, v[3:4]
	s_clause 0x2
	s_load_dwordx2 s[8:9], s[4:5], 0x20
	s_load_dwordx2 s[16:17], s[4:5], 0x30
	;; [unrolled: 1-line block ×3, first 2 shown]
	v_cmp_gt_i32_e64 s1, s15, v0
	s_waitcnt lgkmcnt(0)
	s_sub_i32 s3, s18, s12
	s_sub_i32 s13, s19, s12
	v_mad_u64_u32 v[6:7], null, s14, s3, v[5:6]
	v_cndmask_b32_e32 v7, v8, v9, vcc_lo
	v_cmp_gt_i32_e32 vcc_lo, 32, v10
	s_cmp_lt_i32 s18, s19
	s_mov_b32 s19, 0
	s_cselect_b32 s18, -1, 0
	s_cmp_lg_u32 s2, 0
	v_cndmask_b32_e32 v8, v8, v10, vcc_lo
	v_mul_lo_u32 v11, s15, v6
	v_lshlrev_b32_e32 v10, 2, v7
	v_cmp_eq_u32_e64 s2, 3, v0
	s_cselect_b32 s20, -1, 0
	v_lshlrev_b32_e32 v12, 2, v8
	s_lshl_b32 s22, s15, 5
	s_branch .LBB6_8
.LBB6_7:                                ;   in Loop: Header=BB6_8 Depth=1
	s_or_b32 exec_lo, exec_lo, s6
	v_add_nc_u32_e32 v5, 32, v5
	v_add_nc_u32_e32 v11, s22, v11
	v_cmp_le_i32_e32 vcc_lo, s14, v5
	s_or_b32 s19, vcc_lo, s19
	s_andn2_b32 exec_lo, exec_lo, s19
	s_cbranch_execz .LBB6_24
.LBB6_8:                                ; =>This Loop Header: Depth=1
                                        ;     Child Loop BB6_12 Depth 2
                                        ;       Child Loop BB6_15 Depth 3
	v_mov_b32_e32 v6, 0
	v_mov_b32_e32 v7, 0
	s_andn2_b32 vcc_lo, exec_lo, s18
	s_cbranch_vccnz .LBB6_19
; %bb.9:                                ;   in Loop: Header=BB6_8 Depth=1
	v_mov_b32_e32 v6, 0
	v_mov_b32_e32 v7, 0
	;; [unrolled: 1-line block ×3, first 2 shown]
	s_mov_b32 s6, s3
	s_branch .LBB6_12
.LBB6_10:                               ;   in Loop: Header=BB6_12 Depth=2
	s_inst_prefetch 0x2
	s_or_b32 exec_lo, exec_lo, s25
.LBB6_11:                               ;   in Loop: Header=BB6_12 Depth=2
	s_or_b32 exec_lo, exec_lo, s24
	v_add_nc_u32_e32 v13, s23, v13
	s_add_i32 s6, s6, 1
	s_cmp_ge_i32 s6, s13
	s_cbranch_scc1 .LBB6_19
.LBB6_12:                               ;   Parent Loop BB6_8 Depth=1
                                        ; =>  This Loop Header: Depth=2
                                        ;       Child Loop BB6_15 Depth 3
	s_and_saveexec_b32 s24, s1
	s_cbranch_execz .LBB6_11
; %bb.13:                               ;   in Loop: Header=BB6_12 Depth=2
	s_ashr_i32 s7, s6, 31
	v_mov_b32_e32 v14, v0
	s_lshl_b64 s[26:27], s[6:7], 2
	s_mov_b32 s25, 0
	s_add_u32 s26, s10, s26
	s_addc_u32 s27, s11, s27
	s_load_dword s7, s[26:27], 0x0
	s_waitcnt lgkmcnt(0)
	s_sub_i32 s26, s7, s12
	s_mul_i32 s7, s6, s15
	s_mul_i32 s26, s26, s15
	s_inst_prefetch 0x1
	s_branch .LBB6_15
	.p2align	6
.LBB6_14:                               ;   in Loop: Header=BB6_15 Depth=3
	v_add_nc_u32_e32 v15, s26, v14
	v_ashrrev_i32_e32 v9, 31, v8
	v_add_nc_u32_e32 v14, 4, v14
	v_ashrrev_i32_e32 v16, 31, v15
	v_lshlrev_b64 v[8:9], 3, v[8:9]
	v_lshlrev_b64 v[15:16], 3, v[15:16]
	v_add_co_u32 v8, vcc_lo, s8, v8
	v_add_co_ci_u32_e64 v9, null, s9, v9, vcc_lo
	v_add_co_u32 v15, vcc_lo, s16, v15
	v_add_co_ci_u32_e64 v16, null, s17, v16, vcc_lo
	v_cmp_le_i32_e32 vcc_lo, s15, v14
	global_load_dwordx2 v[8:9], v[8:9], off
	global_load_dwordx2 v[15:16], v[15:16], off
	s_or_b32 s25, vcc_lo, s25
	s_waitcnt vmcnt(0)
	v_fma_f64 v[6:7], v[8:9], v[15:16], v[6:7]
	s_andn2_b32 exec_lo, exec_lo, s25
	s_cbranch_execz .LBB6_10
.LBB6_15:                               ;   Parent Loop BB6_8 Depth=1
                                        ;     Parent Loop BB6_12 Depth=2
                                        ; =>    This Inner Loop Header: Depth=3
	s_and_b32 vcc_lo, exec_lo, s20
	s_cbranch_vccz .LBB6_17
; %bb.16:                               ;   in Loop: Header=BB6_15 Depth=3
	v_add_nc_u32_e32 v8, s7, v14
	v_mad_u64_u32 v[8:9], null, v8, s14, v[5:6]
	s_cbranch_execnz .LBB6_14
	s_branch .LBB6_18
	.p2align	6
.LBB6_17:                               ;   in Loop: Header=BB6_15 Depth=3
                                        ; implicit-def: $vgpr8
.LBB6_18:                               ;   in Loop: Header=BB6_15 Depth=3
	v_add_nc_u32_e32 v8, v13, v14
	s_branch .LBB6_14
.LBB6_19:                               ;   in Loop: Header=BB6_8 Depth=1
	s_waitcnt lgkmcnt(1)
	ds_bpermute_b32 v8, v10, v6
	s_waitcnt lgkmcnt(1)
	ds_bpermute_b32 v9, v10, v7
	s_waitcnt lgkmcnt(0)
	v_add_f64 v[6:7], v[6:7], v[8:9]
	ds_bpermute_b32 v8, v12, v6
	ds_bpermute_b32 v9, v12, v7
	s_and_saveexec_b32 s6, s2
	s_cbranch_execz .LBB6_7
; %bb.20:                               ;   in Loop: Header=BB6_8 Depth=1
	s_waitcnt lgkmcnt(0)
	v_add_f64 v[6:7], v[6:7], v[8:9]
	v_add_nc_u32_e32 v8, s21, v5
	v_ashrrev_i32_e32 v9, 31, v8
	v_mul_f64 v[6:7], v[1:2], v[6:7]
	s_and_saveexec_b32 s7, s0
	s_xor_b32 s7, exec_lo, s7
	s_cbranch_execz .LBB6_22
; %bb.21:                               ;   in Loop: Header=BB6_8 Depth=1
	v_lshlrev_b64 v[8:9], 3, v[8:9]
	v_add_co_u32 v8, vcc_lo, s4, v8
	v_add_co_ci_u32_e64 v9, null, s5, v9, vcc_lo
	global_store_dwordx2 v[8:9], v[6:7], off
                                        ; implicit-def: $vgpr8
                                        ; implicit-def: $vgpr6_vgpr7
.LBB6_22:                               ;   in Loop: Header=BB6_8 Depth=1
	s_andn2_saveexec_b32 s7, s7
	s_cbranch_execz .LBB6_7
; %bb.23:                               ;   in Loop: Header=BB6_8 Depth=1
	v_lshlrev_b64 v[8:9], 3, v[8:9]
	v_add_co_u32 v8, vcc_lo, s4, v8
	v_add_co_ci_u32_e64 v9, null, s5, v9, vcc_lo
	global_load_dwordx2 v[13:14], v[8:9], off
	s_waitcnt vmcnt(0)
	v_fma_f64 v[6:7], v[3:4], v[13:14], v[6:7]
	global_store_dwordx2 v[8:9], v[6:7], off
	s_branch .LBB6_7
.LBB6_24:
	s_endpgm
	.section	.rodata,"a",@progbits
	.p2align	6, 0x0
	.amdhsa_kernel _ZN9rocsparseL23gebsrmvn_general_kernelILj128ELj4EdEEvi20rocsparse_direction_NS_24const_host_device_scalarIT1_EEPKiS6_PKS3_iiS8_S4_PS3_21rocsparse_index_base_b
		.amdhsa_group_segment_fixed_size 0
		.amdhsa_private_segment_fixed_size 0
		.amdhsa_kernarg_size 80
		.amdhsa_user_sgpr_count 6
		.amdhsa_user_sgpr_private_segment_buffer 1
		.amdhsa_user_sgpr_dispatch_ptr 0
		.amdhsa_user_sgpr_queue_ptr 0
		.amdhsa_user_sgpr_kernarg_segment_ptr 1
		.amdhsa_user_sgpr_dispatch_id 0
		.amdhsa_user_sgpr_flat_scratch_init 0
		.amdhsa_user_sgpr_private_segment_size 0
		.amdhsa_wavefront_size32 1
		.amdhsa_uses_dynamic_stack 0
		.amdhsa_system_sgpr_private_segment_wavefront_offset 0
		.amdhsa_system_sgpr_workgroup_id_x 1
		.amdhsa_system_sgpr_workgroup_id_y 0
		.amdhsa_system_sgpr_workgroup_id_z 0
		.amdhsa_system_sgpr_workgroup_info 0
		.amdhsa_system_vgpr_workitem_id 0
		.amdhsa_next_free_vgpr 17
		.amdhsa_next_free_sgpr 28
		.amdhsa_reserve_vcc 1
		.amdhsa_reserve_flat_scratch 0
		.amdhsa_float_round_mode_32 0
		.amdhsa_float_round_mode_16_64 0
		.amdhsa_float_denorm_mode_32 3
		.amdhsa_float_denorm_mode_16_64 3
		.amdhsa_dx10_clamp 1
		.amdhsa_ieee_mode 1
		.amdhsa_fp16_overflow 0
		.amdhsa_workgroup_processor_mode 1
		.amdhsa_memory_ordered 1
		.amdhsa_forward_progress 1
		.amdhsa_shared_vgpr_count 0
		.amdhsa_exception_fp_ieee_invalid_op 0
		.amdhsa_exception_fp_denorm_src 0
		.amdhsa_exception_fp_ieee_div_zero 0
		.amdhsa_exception_fp_ieee_overflow 0
		.amdhsa_exception_fp_ieee_underflow 0
		.amdhsa_exception_fp_ieee_inexact 0
		.amdhsa_exception_int_div_zero 0
	.end_amdhsa_kernel
	.section	.text._ZN9rocsparseL23gebsrmvn_general_kernelILj128ELj4EdEEvi20rocsparse_direction_NS_24const_host_device_scalarIT1_EEPKiS6_PKS3_iiS8_S4_PS3_21rocsparse_index_base_b,"axG",@progbits,_ZN9rocsparseL23gebsrmvn_general_kernelILj128ELj4EdEEvi20rocsparse_direction_NS_24const_host_device_scalarIT1_EEPKiS6_PKS3_iiS8_S4_PS3_21rocsparse_index_base_b,comdat
.Lfunc_end6:
	.size	_ZN9rocsparseL23gebsrmvn_general_kernelILj128ELj4EdEEvi20rocsparse_direction_NS_24const_host_device_scalarIT1_EEPKiS6_PKS3_iiS8_S4_PS3_21rocsparse_index_base_b, .Lfunc_end6-_ZN9rocsparseL23gebsrmvn_general_kernelILj128ELj4EdEEvi20rocsparse_direction_NS_24const_host_device_scalarIT1_EEPKiS6_PKS3_iiS8_S4_PS3_21rocsparse_index_base_b
                                        ; -- End function
	.set _ZN9rocsparseL23gebsrmvn_general_kernelILj128ELj4EdEEvi20rocsparse_direction_NS_24const_host_device_scalarIT1_EEPKiS6_PKS3_iiS8_S4_PS3_21rocsparse_index_base_b.num_vgpr, 17
	.set _ZN9rocsparseL23gebsrmvn_general_kernelILj128ELj4EdEEvi20rocsparse_direction_NS_24const_host_device_scalarIT1_EEPKiS6_PKS3_iiS8_S4_PS3_21rocsparse_index_base_b.num_agpr, 0
	.set _ZN9rocsparseL23gebsrmvn_general_kernelILj128ELj4EdEEvi20rocsparse_direction_NS_24const_host_device_scalarIT1_EEPKiS6_PKS3_iiS8_S4_PS3_21rocsparse_index_base_b.numbered_sgpr, 28
	.set _ZN9rocsparseL23gebsrmvn_general_kernelILj128ELj4EdEEvi20rocsparse_direction_NS_24const_host_device_scalarIT1_EEPKiS6_PKS3_iiS8_S4_PS3_21rocsparse_index_base_b.num_named_barrier, 0
	.set _ZN9rocsparseL23gebsrmvn_general_kernelILj128ELj4EdEEvi20rocsparse_direction_NS_24const_host_device_scalarIT1_EEPKiS6_PKS3_iiS8_S4_PS3_21rocsparse_index_base_b.private_seg_size, 0
	.set _ZN9rocsparseL23gebsrmvn_general_kernelILj128ELj4EdEEvi20rocsparse_direction_NS_24const_host_device_scalarIT1_EEPKiS6_PKS3_iiS8_S4_PS3_21rocsparse_index_base_b.uses_vcc, 1
	.set _ZN9rocsparseL23gebsrmvn_general_kernelILj128ELj4EdEEvi20rocsparse_direction_NS_24const_host_device_scalarIT1_EEPKiS6_PKS3_iiS8_S4_PS3_21rocsparse_index_base_b.uses_flat_scratch, 0
	.set _ZN9rocsparseL23gebsrmvn_general_kernelILj128ELj4EdEEvi20rocsparse_direction_NS_24const_host_device_scalarIT1_EEPKiS6_PKS3_iiS8_S4_PS3_21rocsparse_index_base_b.has_dyn_sized_stack, 0
	.set _ZN9rocsparseL23gebsrmvn_general_kernelILj128ELj4EdEEvi20rocsparse_direction_NS_24const_host_device_scalarIT1_EEPKiS6_PKS3_iiS8_S4_PS3_21rocsparse_index_base_b.has_recursion, 0
	.set _ZN9rocsparseL23gebsrmvn_general_kernelILj128ELj4EdEEvi20rocsparse_direction_NS_24const_host_device_scalarIT1_EEPKiS6_PKS3_iiS8_S4_PS3_21rocsparse_index_base_b.has_indirect_call, 0
	.section	.AMDGPU.csdata,"",@progbits
; Kernel info:
; codeLenInByte = 976
; TotalNumSgprs: 30
; NumVgprs: 17
; ScratchSize: 0
; MemoryBound: 0
; FloatMode: 240
; IeeeMode: 1
; LDSByteSize: 0 bytes/workgroup (compile time only)
; SGPRBlocks: 0
; VGPRBlocks: 2
; NumSGPRsForWavesPerEU: 30
; NumVGPRsForWavesPerEU: 17
; Occupancy: 16
; WaveLimiterHint : 1
; COMPUTE_PGM_RSRC2:SCRATCH_EN: 0
; COMPUTE_PGM_RSRC2:USER_SGPR: 6
; COMPUTE_PGM_RSRC2:TRAP_HANDLER: 0
; COMPUTE_PGM_RSRC2:TGID_X_EN: 1
; COMPUTE_PGM_RSRC2:TGID_Y_EN: 0
; COMPUTE_PGM_RSRC2:TGID_Z_EN: 0
; COMPUTE_PGM_RSRC2:TIDIG_COMP_CNT: 0
	.section	.text._ZN9rocsparseL23gebsrmvn_general_kernelILj256ELj8EdEEvi20rocsparse_direction_NS_24const_host_device_scalarIT1_EEPKiS6_PKS3_iiS8_S4_PS3_21rocsparse_index_base_b,"axG",@progbits,_ZN9rocsparseL23gebsrmvn_general_kernelILj256ELj8EdEEvi20rocsparse_direction_NS_24const_host_device_scalarIT1_EEPKiS6_PKS3_iiS8_S4_PS3_21rocsparse_index_base_b,comdat
	.globl	_ZN9rocsparseL23gebsrmvn_general_kernelILj256ELj8EdEEvi20rocsparse_direction_NS_24const_host_device_scalarIT1_EEPKiS6_PKS3_iiS8_S4_PS3_21rocsparse_index_base_b ; -- Begin function _ZN9rocsparseL23gebsrmvn_general_kernelILj256ELj8EdEEvi20rocsparse_direction_NS_24const_host_device_scalarIT1_EEPKiS6_PKS3_iiS8_S4_PS3_21rocsparse_index_base_b
	.p2align	8
	.type	_ZN9rocsparseL23gebsrmvn_general_kernelILj256ELj8EdEEvi20rocsparse_direction_NS_24const_host_device_scalarIT1_EEPKiS6_PKS3_iiS8_S4_PS3_21rocsparse_index_base_b,@function
_ZN9rocsparseL23gebsrmvn_general_kernelILj256ELj8EdEEvi20rocsparse_direction_NS_24const_host_device_scalarIT1_EEPKiS6_PKS3_iiS8_S4_PS3_21rocsparse_index_base_b: ; @_ZN9rocsparseL23gebsrmvn_general_kernelILj256ELj8EdEEvi20rocsparse_direction_NS_24const_host_device_scalarIT1_EEPKiS6_PKS3_iiS8_S4_PS3_21rocsparse_index_base_b
; %bb.0:
	s_clause 0x2
	s_load_dwordx2 s[12:13], s[4:5], 0x48
	s_load_dwordx2 s[2:3], s[4:5], 0x8
	;; [unrolled: 1-line block ×3, first 2 shown]
	s_waitcnt lgkmcnt(0)
	s_bitcmp1_b32 s13, 0
	v_mov_b32_e32 v1, s2
	v_mov_b32_e32 v2, s3
	s_cselect_b32 s7, -1, 0
	s_and_b32 vcc_lo, exec_lo, s7
	s_xor_b32 s7, s7, -1
	s_cbranch_vccnz .LBB7_2
; %bb.1:
	v_mov_b32_e32 v1, s2
	v_mov_b32_e32 v2, s3
	flat_load_dwordx2 v[1:2], v[1:2]
.LBB7_2:
	v_mov_b32_e32 v4, s1
	v_mov_b32_e32 v3, s0
	s_andn2_b32 vcc_lo, exec_lo, s7
	s_cbranch_vccnz .LBB7_4
; %bb.3:
	v_mov_b32_e32 v4, s1
	v_mov_b32_e32 v3, s0
	flat_load_dwordx2 v[3:4], v[3:4]
.LBB7_4:
	s_waitcnt vmcnt(0) lgkmcnt(0)
	v_cmp_neq_f64_e32 vcc_lo, 0, v[1:2]
	v_cmp_neq_f64_e64 s0, 1.0, v[3:4]
	s_or_b32 s0, vcc_lo, s0
	s_and_saveexec_b32 s1, s0
	s_cbranch_execz .LBB7_24
; %bb.5:
	s_load_dwordx2 s[14:15], s[4:5], 0x28
	v_lshrrev_b32_e32 v5, 3, v0
	s_waitcnt lgkmcnt(0)
	v_cmp_gt_i32_e32 vcc_lo, s14, v5
	s_and_b32 exec_lo, exec_lo, vcc_lo
	s_cbranch_execz .LBB7_24
; %bb.6:
	s_clause 0x1
	s_load_dwordx4 s[8:11], s[4:5], 0x10
	s_load_dword s2, s[4:5], 0x4
	s_ashr_i32 s7, s6, 31
	v_mbcnt_lo_u32_b32 v8, -1, 0
	s_lshl_b64 s[0:1], s[6:7], 2
	v_and_b32_e32 v0, 7, v0
	s_mov_b32 s3, 0
	s_mul_i32 s23, s15, s14
	v_xor_b32_e32 v6, 4, v8
	v_xor_b32_e32 v9, 2, v8
	;; [unrolled: 1-line block ×3, first 2 shown]
	v_cmp_gt_i32_e32 vcc_lo, 32, v6
	v_cndmask_b32_e32 v11, v8, v6, vcc_lo
	v_cmp_gt_i32_e32 vcc_lo, 32, v9
	s_waitcnt lgkmcnt(0)
	s_add_u32 s0, s8, s0
	s_addc_u32 s1, s9, s1
	s_load_dwordx2 s[20:21], s[0:1], 0x0
	v_cmp_eq_f64_e64 s0, 0, v[3:4]
	s_clause 0x2
	s_load_dwordx2 s[8:9], s[4:5], 0x20
	s_load_dwordx2 s[16:17], s[4:5], 0x30
	;; [unrolled: 1-line block ×3, first 2 shown]
	v_cmp_gt_i32_e64 s1, s15, v0
	s_waitcnt lgkmcnt(0)
	s_sub_i32 s13, s20, s12
	s_sub_i32 s18, s21, s12
	v_mad_u64_u32 v[6:7], null, s14, s13, v[5:6]
	v_cndmask_b32_e32 v7, v8, v9, vcc_lo
	v_cmp_gt_i32_e32 vcc_lo, 32, v10
	s_cmp_lt_i32 s20, s21
	s_mul_i32 s21, s14, s6
	s_cselect_b32 s19, -1, 0
	s_cmp_lg_u32 s2, 0
	v_cndmask_b32_e32 v8, v8, v10, vcc_lo
	v_mul_lo_u32 v12, s15, v6
	v_lshlrev_b32_e32 v10, 2, v11
	v_lshlrev_b32_e32 v11, 2, v7
	v_cmp_eq_u32_e64 s2, 7, v0
	v_lshlrev_b32_e32 v13, 2, v8
	s_cselect_b32 s20, -1, 0
	s_lshl_b32 s22, s15, 5
	s_branch .LBB7_8
.LBB7_7:                                ;   in Loop: Header=BB7_8 Depth=1
	s_or_b32 exec_lo, exec_lo, s6
	v_add_nc_u32_e32 v5, 32, v5
	v_add_nc_u32_e32 v12, s22, v12
	v_cmp_le_i32_e32 vcc_lo, s14, v5
	s_or_b32 s3, vcc_lo, s3
	s_andn2_b32 exec_lo, exec_lo, s3
	s_cbranch_execz .LBB7_24
.LBB7_8:                                ; =>This Loop Header: Depth=1
                                        ;     Child Loop BB7_12 Depth 2
                                        ;       Child Loop BB7_15 Depth 3
	v_mov_b32_e32 v6, 0
	v_mov_b32_e32 v7, 0
	s_andn2_b32 vcc_lo, exec_lo, s19
	s_cbranch_vccnz .LBB7_19
; %bb.9:                                ;   in Loop: Header=BB7_8 Depth=1
	v_mov_b32_e32 v6, 0
	v_mov_b32_e32 v7, 0
	;; [unrolled: 1-line block ×3, first 2 shown]
	s_mov_b32 s6, s13
	s_branch .LBB7_12
.LBB7_10:                               ;   in Loop: Header=BB7_12 Depth=2
	s_inst_prefetch 0x2
	s_or_b32 exec_lo, exec_lo, s25
.LBB7_11:                               ;   in Loop: Header=BB7_12 Depth=2
	s_or_b32 exec_lo, exec_lo, s24
	v_add_nc_u32_e32 v14, s23, v14
	s_add_i32 s6, s6, 1
	s_cmp_ge_i32 s6, s18
	s_cbranch_scc1 .LBB7_19
.LBB7_12:                               ;   Parent Loop BB7_8 Depth=1
                                        ; =>  This Loop Header: Depth=2
                                        ;       Child Loop BB7_15 Depth 3
	s_and_saveexec_b32 s24, s1
	s_cbranch_execz .LBB7_11
; %bb.13:                               ;   in Loop: Header=BB7_12 Depth=2
	s_ashr_i32 s7, s6, 31
	v_mov_b32_e32 v15, v0
	s_lshl_b64 s[26:27], s[6:7], 2
	s_mov_b32 s25, 0
	s_add_u32 s26, s10, s26
	s_addc_u32 s27, s11, s27
	s_load_dword s7, s[26:27], 0x0
	s_waitcnt lgkmcnt(0)
	s_sub_i32 s26, s7, s12
	s_mul_i32 s7, s6, s15
	s_mul_i32 s26, s26, s15
	s_inst_prefetch 0x1
	s_branch .LBB7_15
	.p2align	6
.LBB7_14:                               ;   in Loop: Header=BB7_15 Depth=3
	v_add_nc_u32_e32 v16, s26, v15
	v_ashrrev_i32_e32 v9, 31, v8
	v_add_nc_u32_e32 v15, 8, v15
	v_ashrrev_i32_e32 v17, 31, v16
	v_lshlrev_b64 v[8:9], 3, v[8:9]
	v_lshlrev_b64 v[16:17], 3, v[16:17]
	v_add_co_u32 v8, vcc_lo, s8, v8
	v_add_co_ci_u32_e64 v9, null, s9, v9, vcc_lo
	v_add_co_u32 v16, vcc_lo, s16, v16
	v_add_co_ci_u32_e64 v17, null, s17, v17, vcc_lo
	v_cmp_le_i32_e32 vcc_lo, s15, v15
	global_load_dwordx2 v[8:9], v[8:9], off
	global_load_dwordx2 v[16:17], v[16:17], off
	s_or_b32 s25, vcc_lo, s25
	s_waitcnt vmcnt(0)
	v_fma_f64 v[6:7], v[8:9], v[16:17], v[6:7]
	s_andn2_b32 exec_lo, exec_lo, s25
	s_cbranch_execz .LBB7_10
.LBB7_15:                               ;   Parent Loop BB7_8 Depth=1
                                        ;     Parent Loop BB7_12 Depth=2
                                        ; =>    This Inner Loop Header: Depth=3
	s_and_b32 vcc_lo, exec_lo, s20
	s_cbranch_vccz .LBB7_17
; %bb.16:                               ;   in Loop: Header=BB7_15 Depth=3
	v_add_nc_u32_e32 v8, s7, v15
	v_mad_u64_u32 v[8:9], null, v8, s14, v[5:6]
	s_cbranch_execnz .LBB7_14
	s_branch .LBB7_18
	.p2align	6
.LBB7_17:                               ;   in Loop: Header=BB7_15 Depth=3
                                        ; implicit-def: $vgpr8
.LBB7_18:                               ;   in Loop: Header=BB7_15 Depth=3
	v_add_nc_u32_e32 v8, v14, v15
	s_branch .LBB7_14
.LBB7_19:                               ;   in Loop: Header=BB7_8 Depth=1
	s_waitcnt lgkmcnt(1)
	ds_bpermute_b32 v8, v10, v6
	s_waitcnt lgkmcnt(1)
	ds_bpermute_b32 v9, v10, v7
	s_waitcnt lgkmcnt(0)
	v_add_f64 v[6:7], v[6:7], v[8:9]
	ds_bpermute_b32 v8, v11, v6
	ds_bpermute_b32 v9, v11, v7
	s_waitcnt lgkmcnt(0)
	v_add_f64 v[6:7], v[6:7], v[8:9]
	ds_bpermute_b32 v8, v13, v6
	ds_bpermute_b32 v9, v13, v7
	s_and_saveexec_b32 s6, s2
	s_cbranch_execz .LBB7_7
; %bb.20:                               ;   in Loop: Header=BB7_8 Depth=1
	s_waitcnt lgkmcnt(0)
	v_add_f64 v[6:7], v[6:7], v[8:9]
	v_add_nc_u32_e32 v8, s21, v5
	v_ashrrev_i32_e32 v9, 31, v8
	v_mul_f64 v[6:7], v[1:2], v[6:7]
	s_and_saveexec_b32 s7, s0
	s_xor_b32 s7, exec_lo, s7
	s_cbranch_execz .LBB7_22
; %bb.21:                               ;   in Loop: Header=BB7_8 Depth=1
	v_lshlrev_b64 v[8:9], 3, v[8:9]
	v_add_co_u32 v8, vcc_lo, s4, v8
	v_add_co_ci_u32_e64 v9, null, s5, v9, vcc_lo
	global_store_dwordx2 v[8:9], v[6:7], off
                                        ; implicit-def: $vgpr8
                                        ; implicit-def: $vgpr6_vgpr7
.LBB7_22:                               ;   in Loop: Header=BB7_8 Depth=1
	s_andn2_saveexec_b32 s7, s7
	s_cbranch_execz .LBB7_7
; %bb.23:                               ;   in Loop: Header=BB7_8 Depth=1
	v_lshlrev_b64 v[8:9], 3, v[8:9]
	v_add_co_u32 v8, vcc_lo, s4, v8
	v_add_co_ci_u32_e64 v9, null, s5, v9, vcc_lo
	global_load_dwordx2 v[14:15], v[8:9], off
	s_waitcnt vmcnt(0)
	v_fma_f64 v[6:7], v[3:4], v[14:15], v[6:7]
	global_store_dwordx2 v[8:9], v[6:7], off
	s_branch .LBB7_7
.LBB7_24:
	s_endpgm
	.section	.rodata,"a",@progbits
	.p2align	6, 0x0
	.amdhsa_kernel _ZN9rocsparseL23gebsrmvn_general_kernelILj256ELj8EdEEvi20rocsparse_direction_NS_24const_host_device_scalarIT1_EEPKiS6_PKS3_iiS8_S4_PS3_21rocsparse_index_base_b
		.amdhsa_group_segment_fixed_size 0
		.amdhsa_private_segment_fixed_size 0
		.amdhsa_kernarg_size 80
		.amdhsa_user_sgpr_count 6
		.amdhsa_user_sgpr_private_segment_buffer 1
		.amdhsa_user_sgpr_dispatch_ptr 0
		.amdhsa_user_sgpr_queue_ptr 0
		.amdhsa_user_sgpr_kernarg_segment_ptr 1
		.amdhsa_user_sgpr_dispatch_id 0
		.amdhsa_user_sgpr_flat_scratch_init 0
		.amdhsa_user_sgpr_private_segment_size 0
		.amdhsa_wavefront_size32 1
		.amdhsa_uses_dynamic_stack 0
		.amdhsa_system_sgpr_private_segment_wavefront_offset 0
		.amdhsa_system_sgpr_workgroup_id_x 1
		.amdhsa_system_sgpr_workgroup_id_y 0
		.amdhsa_system_sgpr_workgroup_id_z 0
		.amdhsa_system_sgpr_workgroup_info 0
		.amdhsa_system_vgpr_workitem_id 0
		.amdhsa_next_free_vgpr 18
		.amdhsa_next_free_sgpr 28
		.amdhsa_reserve_vcc 1
		.amdhsa_reserve_flat_scratch 0
		.amdhsa_float_round_mode_32 0
		.amdhsa_float_round_mode_16_64 0
		.amdhsa_float_denorm_mode_32 3
		.amdhsa_float_denorm_mode_16_64 3
		.amdhsa_dx10_clamp 1
		.amdhsa_ieee_mode 1
		.amdhsa_fp16_overflow 0
		.amdhsa_workgroup_processor_mode 1
		.amdhsa_memory_ordered 1
		.amdhsa_forward_progress 1
		.amdhsa_shared_vgpr_count 0
		.amdhsa_exception_fp_ieee_invalid_op 0
		.amdhsa_exception_fp_denorm_src 0
		.amdhsa_exception_fp_ieee_div_zero 0
		.amdhsa_exception_fp_ieee_overflow 0
		.amdhsa_exception_fp_ieee_underflow 0
		.amdhsa_exception_fp_ieee_inexact 0
		.amdhsa_exception_int_div_zero 0
	.end_amdhsa_kernel
	.section	.text._ZN9rocsparseL23gebsrmvn_general_kernelILj256ELj8EdEEvi20rocsparse_direction_NS_24const_host_device_scalarIT1_EEPKiS6_PKS3_iiS8_S4_PS3_21rocsparse_index_base_b,"axG",@progbits,_ZN9rocsparseL23gebsrmvn_general_kernelILj256ELj8EdEEvi20rocsparse_direction_NS_24const_host_device_scalarIT1_EEPKiS6_PKS3_iiS8_S4_PS3_21rocsparse_index_base_b,comdat
.Lfunc_end7:
	.size	_ZN9rocsparseL23gebsrmvn_general_kernelILj256ELj8EdEEvi20rocsparse_direction_NS_24const_host_device_scalarIT1_EEPKiS6_PKS3_iiS8_S4_PS3_21rocsparse_index_base_b, .Lfunc_end7-_ZN9rocsparseL23gebsrmvn_general_kernelILj256ELj8EdEEvi20rocsparse_direction_NS_24const_host_device_scalarIT1_EEPKiS6_PKS3_iiS8_S4_PS3_21rocsparse_index_base_b
                                        ; -- End function
	.set _ZN9rocsparseL23gebsrmvn_general_kernelILj256ELj8EdEEvi20rocsparse_direction_NS_24const_host_device_scalarIT1_EEPKiS6_PKS3_iiS8_S4_PS3_21rocsparse_index_base_b.num_vgpr, 18
	.set _ZN9rocsparseL23gebsrmvn_general_kernelILj256ELj8EdEEvi20rocsparse_direction_NS_24const_host_device_scalarIT1_EEPKiS6_PKS3_iiS8_S4_PS3_21rocsparse_index_base_b.num_agpr, 0
	.set _ZN9rocsparseL23gebsrmvn_general_kernelILj256ELj8EdEEvi20rocsparse_direction_NS_24const_host_device_scalarIT1_EEPKiS6_PKS3_iiS8_S4_PS3_21rocsparse_index_base_b.numbered_sgpr, 28
	.set _ZN9rocsparseL23gebsrmvn_general_kernelILj256ELj8EdEEvi20rocsparse_direction_NS_24const_host_device_scalarIT1_EEPKiS6_PKS3_iiS8_S4_PS3_21rocsparse_index_base_b.num_named_barrier, 0
	.set _ZN9rocsparseL23gebsrmvn_general_kernelILj256ELj8EdEEvi20rocsparse_direction_NS_24const_host_device_scalarIT1_EEPKiS6_PKS3_iiS8_S4_PS3_21rocsparse_index_base_b.private_seg_size, 0
	.set _ZN9rocsparseL23gebsrmvn_general_kernelILj256ELj8EdEEvi20rocsparse_direction_NS_24const_host_device_scalarIT1_EEPKiS6_PKS3_iiS8_S4_PS3_21rocsparse_index_base_b.uses_vcc, 1
	.set _ZN9rocsparseL23gebsrmvn_general_kernelILj256ELj8EdEEvi20rocsparse_direction_NS_24const_host_device_scalarIT1_EEPKiS6_PKS3_iiS8_S4_PS3_21rocsparse_index_base_b.uses_flat_scratch, 0
	.set _ZN9rocsparseL23gebsrmvn_general_kernelILj256ELj8EdEEvi20rocsparse_direction_NS_24const_host_device_scalarIT1_EEPKiS6_PKS3_iiS8_S4_PS3_21rocsparse_index_base_b.has_dyn_sized_stack, 0
	.set _ZN9rocsparseL23gebsrmvn_general_kernelILj256ELj8EdEEvi20rocsparse_direction_NS_24const_host_device_scalarIT1_EEPKiS6_PKS3_iiS8_S4_PS3_21rocsparse_index_base_b.has_recursion, 0
	.set _ZN9rocsparseL23gebsrmvn_general_kernelILj256ELj8EdEEvi20rocsparse_direction_NS_24const_host_device_scalarIT1_EEPKiS6_PKS3_iiS8_S4_PS3_21rocsparse_index_base_b.has_indirect_call, 0
	.section	.AMDGPU.csdata,"",@progbits
; Kernel info:
; codeLenInByte = 1004
; TotalNumSgprs: 30
; NumVgprs: 18
; ScratchSize: 0
; MemoryBound: 0
; FloatMode: 240
; IeeeMode: 1
; LDSByteSize: 0 bytes/workgroup (compile time only)
; SGPRBlocks: 0
; VGPRBlocks: 2
; NumSGPRsForWavesPerEU: 30
; NumVGPRsForWavesPerEU: 18
; Occupancy: 16
; WaveLimiterHint : 1
; COMPUTE_PGM_RSRC2:SCRATCH_EN: 0
; COMPUTE_PGM_RSRC2:USER_SGPR: 6
; COMPUTE_PGM_RSRC2:TRAP_HANDLER: 0
; COMPUTE_PGM_RSRC2:TGID_X_EN: 1
; COMPUTE_PGM_RSRC2:TGID_Y_EN: 0
; COMPUTE_PGM_RSRC2:TGID_Z_EN: 0
; COMPUTE_PGM_RSRC2:TIDIG_COMP_CNT: 0
	.section	.text._ZN9rocsparseL23gebsrmvn_general_kernelILj512ELj16EdEEvi20rocsparse_direction_NS_24const_host_device_scalarIT1_EEPKiS6_PKS3_iiS8_S4_PS3_21rocsparse_index_base_b,"axG",@progbits,_ZN9rocsparseL23gebsrmvn_general_kernelILj512ELj16EdEEvi20rocsparse_direction_NS_24const_host_device_scalarIT1_EEPKiS6_PKS3_iiS8_S4_PS3_21rocsparse_index_base_b,comdat
	.globl	_ZN9rocsparseL23gebsrmvn_general_kernelILj512ELj16EdEEvi20rocsparse_direction_NS_24const_host_device_scalarIT1_EEPKiS6_PKS3_iiS8_S4_PS3_21rocsparse_index_base_b ; -- Begin function _ZN9rocsparseL23gebsrmvn_general_kernelILj512ELj16EdEEvi20rocsparse_direction_NS_24const_host_device_scalarIT1_EEPKiS6_PKS3_iiS8_S4_PS3_21rocsparse_index_base_b
	.p2align	8
	.type	_ZN9rocsparseL23gebsrmvn_general_kernelILj512ELj16EdEEvi20rocsparse_direction_NS_24const_host_device_scalarIT1_EEPKiS6_PKS3_iiS8_S4_PS3_21rocsparse_index_base_b,@function
_ZN9rocsparseL23gebsrmvn_general_kernelILj512ELj16EdEEvi20rocsparse_direction_NS_24const_host_device_scalarIT1_EEPKiS6_PKS3_iiS8_S4_PS3_21rocsparse_index_base_b: ; @_ZN9rocsparseL23gebsrmvn_general_kernelILj512ELj16EdEEvi20rocsparse_direction_NS_24const_host_device_scalarIT1_EEPKiS6_PKS3_iiS8_S4_PS3_21rocsparse_index_base_b
; %bb.0:
	s_clause 0x2
	s_load_dwordx2 s[12:13], s[4:5], 0x48
	s_load_dwordx2 s[2:3], s[4:5], 0x8
	;; [unrolled: 1-line block ×3, first 2 shown]
	s_waitcnt lgkmcnt(0)
	s_bitcmp1_b32 s13, 0
	v_mov_b32_e32 v1, s2
	v_mov_b32_e32 v2, s3
	s_cselect_b32 s7, -1, 0
	s_and_b32 vcc_lo, exec_lo, s7
	s_xor_b32 s7, s7, -1
	s_cbranch_vccnz .LBB8_2
; %bb.1:
	v_mov_b32_e32 v1, s2
	v_mov_b32_e32 v2, s3
	flat_load_dwordx2 v[1:2], v[1:2]
.LBB8_2:
	v_mov_b32_e32 v4, s1
	v_mov_b32_e32 v3, s0
	s_andn2_b32 vcc_lo, exec_lo, s7
	s_cbranch_vccnz .LBB8_4
; %bb.3:
	v_mov_b32_e32 v4, s1
	v_mov_b32_e32 v3, s0
	flat_load_dwordx2 v[3:4], v[3:4]
.LBB8_4:
	s_waitcnt vmcnt(0) lgkmcnt(0)
	v_cmp_neq_f64_e32 vcc_lo, 0, v[1:2]
	v_cmp_neq_f64_e64 s0, 1.0, v[3:4]
	s_or_b32 s0, vcc_lo, s0
	s_and_saveexec_b32 s1, s0
	s_cbranch_execz .LBB8_24
; %bb.5:
	s_load_dwordx2 s[14:15], s[4:5], 0x28
	v_lshrrev_b32_e32 v5, 4, v0
	s_waitcnt lgkmcnt(0)
	v_cmp_gt_i32_e32 vcc_lo, s14, v5
	s_and_b32 exec_lo, exec_lo, vcc_lo
	s_cbranch_execz .LBB8_24
; %bb.6:
	s_clause 0x1
	s_load_dwordx4 s[8:11], s[4:5], 0x10
	s_load_dword s2, s[4:5], 0x4
	s_ashr_i32 s7, s6, 31
	v_mbcnt_lo_u32_b32 v8, -1, 0
	s_lshl_b64 s[0:1], s[6:7], 2
	v_and_b32_e32 v0, 15, v0
	s_mov_b32 s3, 0
	s_mul_i32 s23, s15, s14
	v_xor_b32_e32 v6, 8, v8
	v_xor_b32_e32 v7, 4, v8
	;; [unrolled: 1-line block ×4, first 2 shown]
	v_cmp_gt_i32_e32 vcc_lo, 32, v6
	v_cndmask_b32_e32 v11, v8, v6, vcc_lo
	v_cmp_gt_i32_e32 vcc_lo, 32, v7
	s_waitcnt lgkmcnt(0)
	s_add_u32 s0, s8, s0
	s_addc_u32 s1, s9, s1
	s_load_dwordx2 s[20:21], s[0:1], 0x0
	v_cmp_eq_f64_e64 s0, 0, v[3:4]
	s_clause 0x2
	s_load_dwordx2 s[8:9], s[4:5], 0x20
	s_load_dwordx2 s[16:17], s[4:5], 0x30
	;; [unrolled: 1-line block ×3, first 2 shown]
	v_cndmask_b32_e32 v12, v8, v7, vcc_lo
	v_cmp_gt_i32_e32 vcc_lo, 32, v9
	v_cmp_gt_i32_e64 s1, s15, v0
	s_waitcnt lgkmcnt(0)
	s_sub_i32 s13, s20, s12
	s_sub_i32 s18, s21, s12
	v_mad_u64_u32 v[6:7], null, s14, s13, v[5:6]
	v_cndmask_b32_e32 v7, v8, v9, vcc_lo
	v_cmp_gt_i32_e32 vcc_lo, 32, v10
	s_cmp_lt_i32 s20, s21
	s_mul_i32 s21, s14, s6
	s_cselect_b32 s19, -1, 0
	s_cmp_lg_u32 s2, 0
	v_cndmask_b32_e32 v8, v8, v10, vcc_lo
	v_mul_lo_u32 v13, s15, v6
	v_lshlrev_b32_e32 v10, 2, v11
	v_lshlrev_b32_e32 v11, 2, v12
	;; [unrolled: 1-line block ×4, first 2 shown]
	v_cmp_eq_u32_e64 s2, 15, v0
	s_cselect_b32 s20, -1, 0
	s_lshl_b32 s22, s15, 5
	s_branch .LBB8_8
.LBB8_7:                                ;   in Loop: Header=BB8_8 Depth=1
	s_or_b32 exec_lo, exec_lo, s6
	v_add_nc_u32_e32 v5, 32, v5
	v_add_nc_u32_e32 v13, s22, v13
	v_cmp_le_i32_e32 vcc_lo, s14, v5
	s_or_b32 s3, vcc_lo, s3
	s_andn2_b32 exec_lo, exec_lo, s3
	s_cbranch_execz .LBB8_24
.LBB8_8:                                ; =>This Loop Header: Depth=1
                                        ;     Child Loop BB8_12 Depth 2
                                        ;       Child Loop BB8_15 Depth 3
	v_mov_b32_e32 v6, 0
	v_mov_b32_e32 v7, 0
	s_andn2_b32 vcc_lo, exec_lo, s19
	s_cbranch_vccnz .LBB8_19
; %bb.9:                                ;   in Loop: Header=BB8_8 Depth=1
	v_mov_b32_e32 v6, 0
	v_mov_b32_e32 v7, 0
	;; [unrolled: 1-line block ×3, first 2 shown]
	s_mov_b32 s6, s13
	s_branch .LBB8_12
.LBB8_10:                               ;   in Loop: Header=BB8_12 Depth=2
	s_inst_prefetch 0x2
	s_or_b32 exec_lo, exec_lo, s25
.LBB8_11:                               ;   in Loop: Header=BB8_12 Depth=2
	s_or_b32 exec_lo, exec_lo, s24
	v_add_nc_u32_e32 v15, s23, v15
	s_add_i32 s6, s6, 1
	s_cmp_ge_i32 s6, s18
	s_cbranch_scc1 .LBB8_19
.LBB8_12:                               ;   Parent Loop BB8_8 Depth=1
                                        ; =>  This Loop Header: Depth=2
                                        ;       Child Loop BB8_15 Depth 3
	s_and_saveexec_b32 s24, s1
	s_cbranch_execz .LBB8_11
; %bb.13:                               ;   in Loop: Header=BB8_12 Depth=2
	s_ashr_i32 s7, s6, 31
	v_mov_b32_e32 v16, v0
	s_lshl_b64 s[26:27], s[6:7], 2
	s_mov_b32 s25, 0
	s_add_u32 s26, s10, s26
	s_addc_u32 s27, s11, s27
	s_load_dword s7, s[26:27], 0x0
	s_waitcnt lgkmcnt(0)
	s_sub_i32 s26, s7, s12
	s_mul_i32 s7, s6, s15
	s_mul_i32 s26, s26, s15
	s_inst_prefetch 0x1
	s_branch .LBB8_15
	.p2align	6
.LBB8_14:                               ;   in Loop: Header=BB8_15 Depth=3
	v_add_nc_u32_e32 v17, s26, v16
	v_ashrrev_i32_e32 v9, 31, v8
	v_add_nc_u32_e32 v16, 16, v16
	v_ashrrev_i32_e32 v18, 31, v17
	v_lshlrev_b64 v[8:9], 3, v[8:9]
	v_lshlrev_b64 v[17:18], 3, v[17:18]
	v_add_co_u32 v8, vcc_lo, s8, v8
	v_add_co_ci_u32_e64 v9, null, s9, v9, vcc_lo
	v_add_co_u32 v17, vcc_lo, s16, v17
	v_add_co_ci_u32_e64 v18, null, s17, v18, vcc_lo
	v_cmp_le_i32_e32 vcc_lo, s15, v16
	global_load_dwordx2 v[8:9], v[8:9], off
	global_load_dwordx2 v[17:18], v[17:18], off
	s_or_b32 s25, vcc_lo, s25
	s_waitcnt vmcnt(0)
	v_fma_f64 v[6:7], v[8:9], v[17:18], v[6:7]
	s_andn2_b32 exec_lo, exec_lo, s25
	s_cbranch_execz .LBB8_10
.LBB8_15:                               ;   Parent Loop BB8_8 Depth=1
                                        ;     Parent Loop BB8_12 Depth=2
                                        ; =>    This Inner Loop Header: Depth=3
	s_and_b32 vcc_lo, exec_lo, s20
	s_cbranch_vccz .LBB8_17
; %bb.16:                               ;   in Loop: Header=BB8_15 Depth=3
	v_add_nc_u32_e32 v8, s7, v16
	v_mad_u64_u32 v[8:9], null, v8, s14, v[5:6]
	s_cbranch_execnz .LBB8_14
	s_branch .LBB8_18
	.p2align	6
.LBB8_17:                               ;   in Loop: Header=BB8_15 Depth=3
                                        ; implicit-def: $vgpr8
.LBB8_18:                               ;   in Loop: Header=BB8_15 Depth=3
	v_add_nc_u32_e32 v8, v15, v16
	s_branch .LBB8_14
.LBB8_19:                               ;   in Loop: Header=BB8_8 Depth=1
	s_waitcnt lgkmcnt(1)
	ds_bpermute_b32 v8, v10, v6
	s_waitcnt lgkmcnt(1)
	ds_bpermute_b32 v9, v10, v7
	s_waitcnt lgkmcnt(0)
	v_add_f64 v[6:7], v[6:7], v[8:9]
	ds_bpermute_b32 v8, v11, v6
	ds_bpermute_b32 v9, v11, v7
	s_waitcnt lgkmcnt(0)
	v_add_f64 v[6:7], v[6:7], v[8:9]
	ds_bpermute_b32 v8, v12, v6
	;; [unrolled: 4-line block ×3, first 2 shown]
	ds_bpermute_b32 v9, v14, v7
	s_and_saveexec_b32 s6, s2
	s_cbranch_execz .LBB8_7
; %bb.20:                               ;   in Loop: Header=BB8_8 Depth=1
	s_waitcnt lgkmcnt(0)
	v_add_f64 v[6:7], v[6:7], v[8:9]
	v_add_nc_u32_e32 v8, s21, v5
	v_ashrrev_i32_e32 v9, 31, v8
	v_mul_f64 v[6:7], v[1:2], v[6:7]
	s_and_saveexec_b32 s7, s0
	s_xor_b32 s7, exec_lo, s7
	s_cbranch_execz .LBB8_22
; %bb.21:                               ;   in Loop: Header=BB8_8 Depth=1
	v_lshlrev_b64 v[8:9], 3, v[8:9]
	v_add_co_u32 v8, vcc_lo, s4, v8
	v_add_co_ci_u32_e64 v9, null, s5, v9, vcc_lo
	global_store_dwordx2 v[8:9], v[6:7], off
                                        ; implicit-def: $vgpr8
                                        ; implicit-def: $vgpr6_vgpr7
.LBB8_22:                               ;   in Loop: Header=BB8_8 Depth=1
	s_andn2_saveexec_b32 s7, s7
	s_cbranch_execz .LBB8_7
; %bb.23:                               ;   in Loop: Header=BB8_8 Depth=1
	v_lshlrev_b64 v[8:9], 3, v[8:9]
	v_add_co_u32 v8, vcc_lo, s4, v8
	v_add_co_ci_u32_e64 v9, null, s5, v9, vcc_lo
	global_load_dwordx2 v[15:16], v[8:9], off
	s_waitcnt vmcnt(0)
	v_fma_f64 v[6:7], v[3:4], v[15:16], v[6:7]
	global_store_dwordx2 v[8:9], v[6:7], off
	s_branch .LBB8_7
.LBB8_24:
	s_endpgm
	.section	.rodata,"a",@progbits
	.p2align	6, 0x0
	.amdhsa_kernel _ZN9rocsparseL23gebsrmvn_general_kernelILj512ELj16EdEEvi20rocsparse_direction_NS_24const_host_device_scalarIT1_EEPKiS6_PKS3_iiS8_S4_PS3_21rocsparse_index_base_b
		.amdhsa_group_segment_fixed_size 0
		.amdhsa_private_segment_fixed_size 0
		.amdhsa_kernarg_size 80
		.amdhsa_user_sgpr_count 6
		.amdhsa_user_sgpr_private_segment_buffer 1
		.amdhsa_user_sgpr_dispatch_ptr 0
		.amdhsa_user_sgpr_queue_ptr 0
		.amdhsa_user_sgpr_kernarg_segment_ptr 1
		.amdhsa_user_sgpr_dispatch_id 0
		.amdhsa_user_sgpr_flat_scratch_init 0
		.amdhsa_user_sgpr_private_segment_size 0
		.amdhsa_wavefront_size32 1
		.amdhsa_uses_dynamic_stack 0
		.amdhsa_system_sgpr_private_segment_wavefront_offset 0
		.amdhsa_system_sgpr_workgroup_id_x 1
		.amdhsa_system_sgpr_workgroup_id_y 0
		.amdhsa_system_sgpr_workgroup_id_z 0
		.amdhsa_system_sgpr_workgroup_info 0
		.amdhsa_system_vgpr_workitem_id 0
		.amdhsa_next_free_vgpr 19
		.amdhsa_next_free_sgpr 28
		.amdhsa_reserve_vcc 1
		.amdhsa_reserve_flat_scratch 0
		.amdhsa_float_round_mode_32 0
		.amdhsa_float_round_mode_16_64 0
		.amdhsa_float_denorm_mode_32 3
		.amdhsa_float_denorm_mode_16_64 3
		.amdhsa_dx10_clamp 1
		.amdhsa_ieee_mode 1
		.amdhsa_fp16_overflow 0
		.amdhsa_workgroup_processor_mode 1
		.amdhsa_memory_ordered 1
		.amdhsa_forward_progress 1
		.amdhsa_shared_vgpr_count 0
		.amdhsa_exception_fp_ieee_invalid_op 0
		.amdhsa_exception_fp_denorm_src 0
		.amdhsa_exception_fp_ieee_div_zero 0
		.amdhsa_exception_fp_ieee_overflow 0
		.amdhsa_exception_fp_ieee_underflow 0
		.amdhsa_exception_fp_ieee_inexact 0
		.amdhsa_exception_int_div_zero 0
	.end_amdhsa_kernel
	.section	.text._ZN9rocsparseL23gebsrmvn_general_kernelILj512ELj16EdEEvi20rocsparse_direction_NS_24const_host_device_scalarIT1_EEPKiS6_PKS3_iiS8_S4_PS3_21rocsparse_index_base_b,"axG",@progbits,_ZN9rocsparseL23gebsrmvn_general_kernelILj512ELj16EdEEvi20rocsparse_direction_NS_24const_host_device_scalarIT1_EEPKiS6_PKS3_iiS8_S4_PS3_21rocsparse_index_base_b,comdat
.Lfunc_end8:
	.size	_ZN9rocsparseL23gebsrmvn_general_kernelILj512ELj16EdEEvi20rocsparse_direction_NS_24const_host_device_scalarIT1_EEPKiS6_PKS3_iiS8_S4_PS3_21rocsparse_index_base_b, .Lfunc_end8-_ZN9rocsparseL23gebsrmvn_general_kernelILj512ELj16EdEEvi20rocsparse_direction_NS_24const_host_device_scalarIT1_EEPKiS6_PKS3_iiS8_S4_PS3_21rocsparse_index_base_b
                                        ; -- End function
	.set _ZN9rocsparseL23gebsrmvn_general_kernelILj512ELj16EdEEvi20rocsparse_direction_NS_24const_host_device_scalarIT1_EEPKiS6_PKS3_iiS8_S4_PS3_21rocsparse_index_base_b.num_vgpr, 19
	.set _ZN9rocsparseL23gebsrmvn_general_kernelILj512ELj16EdEEvi20rocsparse_direction_NS_24const_host_device_scalarIT1_EEPKiS6_PKS3_iiS8_S4_PS3_21rocsparse_index_base_b.num_agpr, 0
	.set _ZN9rocsparseL23gebsrmvn_general_kernelILj512ELj16EdEEvi20rocsparse_direction_NS_24const_host_device_scalarIT1_EEPKiS6_PKS3_iiS8_S4_PS3_21rocsparse_index_base_b.numbered_sgpr, 28
	.set _ZN9rocsparseL23gebsrmvn_general_kernelILj512ELj16EdEEvi20rocsparse_direction_NS_24const_host_device_scalarIT1_EEPKiS6_PKS3_iiS8_S4_PS3_21rocsparse_index_base_b.num_named_barrier, 0
	.set _ZN9rocsparseL23gebsrmvn_general_kernelILj512ELj16EdEEvi20rocsparse_direction_NS_24const_host_device_scalarIT1_EEPKiS6_PKS3_iiS8_S4_PS3_21rocsparse_index_base_b.private_seg_size, 0
	.set _ZN9rocsparseL23gebsrmvn_general_kernelILj512ELj16EdEEvi20rocsparse_direction_NS_24const_host_device_scalarIT1_EEPKiS6_PKS3_iiS8_S4_PS3_21rocsparse_index_base_b.uses_vcc, 1
	.set _ZN9rocsparseL23gebsrmvn_general_kernelILj512ELj16EdEEvi20rocsparse_direction_NS_24const_host_device_scalarIT1_EEPKiS6_PKS3_iiS8_S4_PS3_21rocsparse_index_base_b.uses_flat_scratch, 0
	.set _ZN9rocsparseL23gebsrmvn_general_kernelILj512ELj16EdEEvi20rocsparse_direction_NS_24const_host_device_scalarIT1_EEPKiS6_PKS3_iiS8_S4_PS3_21rocsparse_index_base_b.has_dyn_sized_stack, 0
	.set _ZN9rocsparseL23gebsrmvn_general_kernelILj512ELj16EdEEvi20rocsparse_direction_NS_24const_host_device_scalarIT1_EEPKiS6_PKS3_iiS8_S4_PS3_21rocsparse_index_base_b.has_recursion, 0
	.set _ZN9rocsparseL23gebsrmvn_general_kernelILj512ELj16EdEEvi20rocsparse_direction_NS_24const_host_device_scalarIT1_EEPKiS6_PKS3_iiS8_S4_PS3_21rocsparse_index_base_b.has_indirect_call, 0
	.section	.AMDGPU.csdata,"",@progbits
; Kernel info:
; codeLenInByte = 1032
; TotalNumSgprs: 30
; NumVgprs: 19
; ScratchSize: 0
; MemoryBound: 0
; FloatMode: 240
; IeeeMode: 1
; LDSByteSize: 0 bytes/workgroup (compile time only)
; SGPRBlocks: 0
; VGPRBlocks: 2
; NumSGPRsForWavesPerEU: 30
; NumVGPRsForWavesPerEU: 19
; Occupancy: 16
; WaveLimiterHint : 1
; COMPUTE_PGM_RSRC2:SCRATCH_EN: 0
; COMPUTE_PGM_RSRC2:USER_SGPR: 6
; COMPUTE_PGM_RSRC2:TRAP_HANDLER: 0
; COMPUTE_PGM_RSRC2:TGID_X_EN: 1
; COMPUTE_PGM_RSRC2:TGID_Y_EN: 0
; COMPUTE_PGM_RSRC2:TGID_Z_EN: 0
; COMPUTE_PGM_RSRC2:TIDIG_COMP_CNT: 0
	.section	.text._ZN9rocsparseL23gebsrmvn_general_kernelILj1024ELj32EdEEvi20rocsparse_direction_NS_24const_host_device_scalarIT1_EEPKiS6_PKS3_iiS8_S4_PS3_21rocsparse_index_base_b,"axG",@progbits,_ZN9rocsparseL23gebsrmvn_general_kernelILj1024ELj32EdEEvi20rocsparse_direction_NS_24const_host_device_scalarIT1_EEPKiS6_PKS3_iiS8_S4_PS3_21rocsparse_index_base_b,comdat
	.globl	_ZN9rocsparseL23gebsrmvn_general_kernelILj1024ELj32EdEEvi20rocsparse_direction_NS_24const_host_device_scalarIT1_EEPKiS6_PKS3_iiS8_S4_PS3_21rocsparse_index_base_b ; -- Begin function _ZN9rocsparseL23gebsrmvn_general_kernelILj1024ELj32EdEEvi20rocsparse_direction_NS_24const_host_device_scalarIT1_EEPKiS6_PKS3_iiS8_S4_PS3_21rocsparse_index_base_b
	.p2align	8
	.type	_ZN9rocsparseL23gebsrmvn_general_kernelILj1024ELj32EdEEvi20rocsparse_direction_NS_24const_host_device_scalarIT1_EEPKiS6_PKS3_iiS8_S4_PS3_21rocsparse_index_base_b,@function
_ZN9rocsparseL23gebsrmvn_general_kernelILj1024ELj32EdEEvi20rocsparse_direction_NS_24const_host_device_scalarIT1_EEPKiS6_PKS3_iiS8_S4_PS3_21rocsparse_index_base_b: ; @_ZN9rocsparseL23gebsrmvn_general_kernelILj1024ELj32EdEEvi20rocsparse_direction_NS_24const_host_device_scalarIT1_EEPKiS6_PKS3_iiS8_S4_PS3_21rocsparse_index_base_b
; %bb.0:
	s_clause 0x2
	s_load_dwordx2 s[12:13], s[4:5], 0x48
	s_load_dwordx2 s[2:3], s[4:5], 0x8
	;; [unrolled: 1-line block ×3, first 2 shown]
	s_waitcnt lgkmcnt(0)
	s_bitcmp1_b32 s13, 0
	v_mov_b32_e32 v1, s2
	v_mov_b32_e32 v2, s3
	s_cselect_b32 s7, -1, 0
	s_and_b32 vcc_lo, exec_lo, s7
	s_xor_b32 s7, s7, -1
	s_cbranch_vccnz .LBB9_2
; %bb.1:
	v_mov_b32_e32 v1, s2
	v_mov_b32_e32 v2, s3
	flat_load_dwordx2 v[1:2], v[1:2]
.LBB9_2:
	v_mov_b32_e32 v4, s1
	v_mov_b32_e32 v3, s0
	s_andn2_b32 vcc_lo, exec_lo, s7
	s_cbranch_vccnz .LBB9_4
; %bb.3:
	v_mov_b32_e32 v4, s1
	v_mov_b32_e32 v3, s0
	flat_load_dwordx2 v[3:4], v[3:4]
.LBB9_4:
	s_waitcnt vmcnt(0) lgkmcnt(0)
	v_cmp_neq_f64_e32 vcc_lo, 0, v[1:2]
	v_cmp_neq_f64_e64 s0, 1.0, v[3:4]
	s_or_b32 s0, vcc_lo, s0
	s_and_saveexec_b32 s1, s0
	s_cbranch_execz .LBB9_24
; %bb.5:
	s_load_dwordx2 s[14:15], s[4:5], 0x28
	v_lshrrev_b32_e32 v5, 5, v0
	s_waitcnt lgkmcnt(0)
	v_cmp_gt_i32_e32 vcc_lo, s14, v5
	s_and_b32 exec_lo, exec_lo, vcc_lo
	s_cbranch_execz .LBB9_24
; %bb.6:
	s_clause 0x1
	s_load_dwordx4 s[8:11], s[4:5], 0x10
	s_load_dword s2, s[4:5], 0x4
	v_mbcnt_lo_u32_b32 v8, -1, 0
	s_ashr_i32 s7, s6, 31
	v_and_b32_e32 v0, 31, v0
	s_lshl_b64 s[0:1], s[6:7], 2
	s_mov_b32 s3, 0
	v_xor_b32_e32 v6, 16, v8
	v_xor_b32_e32 v7, 8, v8
	;; [unrolled: 1-line block ×5, first 2 shown]
	v_cmp_gt_i32_e32 vcc_lo, 32, v6
	s_mul_i32 s23, s15, s14
	v_cndmask_b32_e32 v12, v8, v6, vcc_lo
	v_cmp_gt_i32_e32 vcc_lo, 32, v7
	s_waitcnt lgkmcnt(0)
	s_add_u32 s0, s8, s0
	s_addc_u32 s1, s9, s1
	s_load_dwordx2 s[20:21], s[0:1], 0x0
	s_clause 0x2
	s_load_dwordx2 s[8:9], s[4:5], 0x20
	s_load_dwordx2 s[16:17], s[4:5], 0x30
	;; [unrolled: 1-line block ×3, first 2 shown]
	v_cndmask_b32_e32 v13, v8, v7, vcc_lo
	v_cmp_gt_i32_e32 vcc_lo, 32, v9
	v_cmp_eq_f64_e64 s0, 0, v[3:4]
	v_cmp_gt_i32_e64 s1, s15, v0
	v_cndmask_b32_e32 v9, v8, v9, vcc_lo
	v_cmp_gt_i32_e32 vcc_lo, 32, v10
	v_cndmask_b32_e32 v14, v8, v10, vcc_lo
	v_cmp_gt_i32_e32 vcc_lo, 32, v11
	v_lshlrev_b32_e32 v10, 2, v12
	v_lshlrev_b32_e32 v12, 2, v9
	s_waitcnt lgkmcnt(0)
	s_sub_i32 s13, s20, s12
	s_sub_i32 s18, s21, s12
	v_mad_u64_u32 v[6:7], null, s14, s13, v[5:6]
	v_cndmask_b32_e32 v7, v8, v11, vcc_lo
	v_lshlrev_b32_e32 v11, 2, v13
	v_lshlrev_b32_e32 v13, 2, v14
	s_cmp_lt_i32 s20, s21
	s_mul_i32 s21, s14, s6
	s_cselect_b32 s19, -1, 0
	v_mul_lo_u32 v14, s15, v6
	s_cmp_lg_u32 s2, 0
	v_lshlrev_b32_e32 v15, 2, v7
	v_cmp_eq_u32_e64 s2, 31, v0
	s_cselect_b32 s20, -1, 0
	s_lshl_b32 s22, s15, 5
	s_branch .LBB9_8
.LBB9_7:                                ;   in Loop: Header=BB9_8 Depth=1
	s_or_b32 exec_lo, exec_lo, s6
	v_add_nc_u32_e32 v5, 32, v5
	v_add_nc_u32_e32 v14, s22, v14
	v_cmp_le_i32_e32 vcc_lo, s14, v5
	s_or_b32 s3, vcc_lo, s3
	s_andn2_b32 exec_lo, exec_lo, s3
	s_cbranch_execz .LBB9_24
.LBB9_8:                                ; =>This Loop Header: Depth=1
                                        ;     Child Loop BB9_12 Depth 2
                                        ;       Child Loop BB9_15 Depth 3
	v_mov_b32_e32 v6, 0
	v_mov_b32_e32 v7, 0
	s_andn2_b32 vcc_lo, exec_lo, s19
	s_cbranch_vccnz .LBB9_19
; %bb.9:                                ;   in Loop: Header=BB9_8 Depth=1
	v_mov_b32_e32 v6, 0
	v_mov_b32_e32 v7, 0
	;; [unrolled: 1-line block ×3, first 2 shown]
	s_mov_b32 s6, s13
	s_branch .LBB9_12
.LBB9_10:                               ;   in Loop: Header=BB9_12 Depth=2
	s_inst_prefetch 0x2
	s_or_b32 exec_lo, exec_lo, s25
.LBB9_11:                               ;   in Loop: Header=BB9_12 Depth=2
	s_or_b32 exec_lo, exec_lo, s24
	v_add_nc_u32_e32 v16, s23, v16
	s_add_i32 s6, s6, 1
	s_cmp_ge_i32 s6, s18
	s_cbranch_scc1 .LBB9_19
.LBB9_12:                               ;   Parent Loop BB9_8 Depth=1
                                        ; =>  This Loop Header: Depth=2
                                        ;       Child Loop BB9_15 Depth 3
	s_and_saveexec_b32 s24, s1
	s_cbranch_execz .LBB9_11
; %bb.13:                               ;   in Loop: Header=BB9_12 Depth=2
	s_ashr_i32 s7, s6, 31
	v_mov_b32_e32 v17, v0
	s_lshl_b64 s[26:27], s[6:7], 2
	s_mov_b32 s25, 0
	s_add_u32 s26, s10, s26
	s_addc_u32 s27, s11, s27
	s_load_dword s7, s[26:27], 0x0
	s_waitcnt lgkmcnt(0)
	s_sub_i32 s26, s7, s12
	s_mul_i32 s7, s6, s15
	s_mul_i32 s26, s26, s15
	s_inst_prefetch 0x1
	s_branch .LBB9_15
	.p2align	6
.LBB9_14:                               ;   in Loop: Header=BB9_15 Depth=3
	v_add_nc_u32_e32 v18, s26, v17
	v_ashrrev_i32_e32 v9, 31, v8
	v_add_nc_u32_e32 v17, 32, v17
	v_ashrrev_i32_e32 v19, 31, v18
	v_lshlrev_b64 v[8:9], 3, v[8:9]
	v_lshlrev_b64 v[18:19], 3, v[18:19]
	v_add_co_u32 v8, vcc_lo, s8, v8
	v_add_co_ci_u32_e64 v9, null, s9, v9, vcc_lo
	v_add_co_u32 v18, vcc_lo, s16, v18
	v_add_co_ci_u32_e64 v19, null, s17, v19, vcc_lo
	v_cmp_le_i32_e32 vcc_lo, s15, v17
	global_load_dwordx2 v[8:9], v[8:9], off
	global_load_dwordx2 v[18:19], v[18:19], off
	s_or_b32 s25, vcc_lo, s25
	s_waitcnt vmcnt(0)
	v_fma_f64 v[6:7], v[8:9], v[18:19], v[6:7]
	s_andn2_b32 exec_lo, exec_lo, s25
	s_cbranch_execz .LBB9_10
.LBB9_15:                               ;   Parent Loop BB9_8 Depth=1
                                        ;     Parent Loop BB9_12 Depth=2
                                        ; =>    This Inner Loop Header: Depth=3
	s_and_b32 vcc_lo, exec_lo, s20
	s_cbranch_vccz .LBB9_17
; %bb.16:                               ;   in Loop: Header=BB9_15 Depth=3
	v_add_nc_u32_e32 v8, s7, v17
	v_mad_u64_u32 v[8:9], null, v8, s14, v[5:6]
	s_cbranch_execnz .LBB9_14
	s_branch .LBB9_18
	.p2align	6
.LBB9_17:                               ;   in Loop: Header=BB9_15 Depth=3
                                        ; implicit-def: $vgpr8
.LBB9_18:                               ;   in Loop: Header=BB9_15 Depth=3
	v_add_nc_u32_e32 v8, v16, v17
	s_branch .LBB9_14
.LBB9_19:                               ;   in Loop: Header=BB9_8 Depth=1
	s_waitcnt lgkmcnt(1)
	ds_bpermute_b32 v8, v10, v6
	s_waitcnt lgkmcnt(1)
	ds_bpermute_b32 v9, v10, v7
	s_waitcnt lgkmcnt(0)
	v_add_f64 v[6:7], v[6:7], v[8:9]
	ds_bpermute_b32 v8, v11, v6
	ds_bpermute_b32 v9, v11, v7
	s_waitcnt lgkmcnt(0)
	v_add_f64 v[6:7], v[6:7], v[8:9]
	ds_bpermute_b32 v8, v12, v6
	;; [unrolled: 4-line block ×4, first 2 shown]
	ds_bpermute_b32 v9, v15, v7
	s_and_saveexec_b32 s6, s2
	s_cbranch_execz .LBB9_7
; %bb.20:                               ;   in Loop: Header=BB9_8 Depth=1
	s_waitcnt lgkmcnt(0)
	v_add_f64 v[6:7], v[6:7], v[8:9]
	v_add_nc_u32_e32 v8, s21, v5
	v_ashrrev_i32_e32 v9, 31, v8
	v_mul_f64 v[6:7], v[1:2], v[6:7]
	s_and_saveexec_b32 s7, s0
	s_xor_b32 s7, exec_lo, s7
	s_cbranch_execz .LBB9_22
; %bb.21:                               ;   in Loop: Header=BB9_8 Depth=1
	v_lshlrev_b64 v[8:9], 3, v[8:9]
	v_add_co_u32 v8, vcc_lo, s4, v8
	v_add_co_ci_u32_e64 v9, null, s5, v9, vcc_lo
	global_store_dwordx2 v[8:9], v[6:7], off
                                        ; implicit-def: $vgpr8
                                        ; implicit-def: $vgpr6_vgpr7
.LBB9_22:                               ;   in Loop: Header=BB9_8 Depth=1
	s_andn2_saveexec_b32 s7, s7
	s_cbranch_execz .LBB9_7
; %bb.23:                               ;   in Loop: Header=BB9_8 Depth=1
	v_lshlrev_b64 v[8:9], 3, v[8:9]
	v_add_co_u32 v8, vcc_lo, s4, v8
	v_add_co_ci_u32_e64 v9, null, s5, v9, vcc_lo
	global_load_dwordx2 v[16:17], v[8:9], off
	s_waitcnt vmcnt(0)
	v_fma_f64 v[6:7], v[3:4], v[16:17], v[6:7]
	global_store_dwordx2 v[8:9], v[6:7], off
	s_branch .LBB9_7
.LBB9_24:
	s_endpgm
	.section	.rodata,"a",@progbits
	.p2align	6, 0x0
	.amdhsa_kernel _ZN9rocsparseL23gebsrmvn_general_kernelILj1024ELj32EdEEvi20rocsparse_direction_NS_24const_host_device_scalarIT1_EEPKiS6_PKS3_iiS8_S4_PS3_21rocsparse_index_base_b
		.amdhsa_group_segment_fixed_size 0
		.amdhsa_private_segment_fixed_size 0
		.amdhsa_kernarg_size 80
		.amdhsa_user_sgpr_count 6
		.amdhsa_user_sgpr_private_segment_buffer 1
		.amdhsa_user_sgpr_dispatch_ptr 0
		.amdhsa_user_sgpr_queue_ptr 0
		.amdhsa_user_sgpr_kernarg_segment_ptr 1
		.amdhsa_user_sgpr_dispatch_id 0
		.amdhsa_user_sgpr_flat_scratch_init 0
		.amdhsa_user_sgpr_private_segment_size 0
		.amdhsa_wavefront_size32 1
		.amdhsa_uses_dynamic_stack 0
		.amdhsa_system_sgpr_private_segment_wavefront_offset 0
		.amdhsa_system_sgpr_workgroup_id_x 1
		.amdhsa_system_sgpr_workgroup_id_y 0
		.amdhsa_system_sgpr_workgroup_id_z 0
		.amdhsa_system_sgpr_workgroup_info 0
		.amdhsa_system_vgpr_workitem_id 0
		.amdhsa_next_free_vgpr 20
		.amdhsa_next_free_sgpr 28
		.amdhsa_reserve_vcc 1
		.amdhsa_reserve_flat_scratch 0
		.amdhsa_float_round_mode_32 0
		.amdhsa_float_round_mode_16_64 0
		.amdhsa_float_denorm_mode_32 3
		.amdhsa_float_denorm_mode_16_64 3
		.amdhsa_dx10_clamp 1
		.amdhsa_ieee_mode 1
		.amdhsa_fp16_overflow 0
		.amdhsa_workgroup_processor_mode 1
		.amdhsa_memory_ordered 1
		.amdhsa_forward_progress 1
		.amdhsa_shared_vgpr_count 0
		.amdhsa_exception_fp_ieee_invalid_op 0
		.amdhsa_exception_fp_denorm_src 0
		.amdhsa_exception_fp_ieee_div_zero 0
		.amdhsa_exception_fp_ieee_overflow 0
		.amdhsa_exception_fp_ieee_underflow 0
		.amdhsa_exception_fp_ieee_inexact 0
		.amdhsa_exception_int_div_zero 0
	.end_amdhsa_kernel
	.section	.text._ZN9rocsparseL23gebsrmvn_general_kernelILj1024ELj32EdEEvi20rocsparse_direction_NS_24const_host_device_scalarIT1_EEPKiS6_PKS3_iiS8_S4_PS3_21rocsparse_index_base_b,"axG",@progbits,_ZN9rocsparseL23gebsrmvn_general_kernelILj1024ELj32EdEEvi20rocsparse_direction_NS_24const_host_device_scalarIT1_EEPKiS6_PKS3_iiS8_S4_PS3_21rocsparse_index_base_b,comdat
.Lfunc_end9:
	.size	_ZN9rocsparseL23gebsrmvn_general_kernelILj1024ELj32EdEEvi20rocsparse_direction_NS_24const_host_device_scalarIT1_EEPKiS6_PKS3_iiS8_S4_PS3_21rocsparse_index_base_b, .Lfunc_end9-_ZN9rocsparseL23gebsrmvn_general_kernelILj1024ELj32EdEEvi20rocsparse_direction_NS_24const_host_device_scalarIT1_EEPKiS6_PKS3_iiS8_S4_PS3_21rocsparse_index_base_b
                                        ; -- End function
	.set _ZN9rocsparseL23gebsrmvn_general_kernelILj1024ELj32EdEEvi20rocsparse_direction_NS_24const_host_device_scalarIT1_EEPKiS6_PKS3_iiS8_S4_PS3_21rocsparse_index_base_b.num_vgpr, 20
	.set _ZN9rocsparseL23gebsrmvn_general_kernelILj1024ELj32EdEEvi20rocsparse_direction_NS_24const_host_device_scalarIT1_EEPKiS6_PKS3_iiS8_S4_PS3_21rocsparse_index_base_b.num_agpr, 0
	.set _ZN9rocsparseL23gebsrmvn_general_kernelILj1024ELj32EdEEvi20rocsparse_direction_NS_24const_host_device_scalarIT1_EEPKiS6_PKS3_iiS8_S4_PS3_21rocsparse_index_base_b.numbered_sgpr, 28
	.set _ZN9rocsparseL23gebsrmvn_general_kernelILj1024ELj32EdEEvi20rocsparse_direction_NS_24const_host_device_scalarIT1_EEPKiS6_PKS3_iiS8_S4_PS3_21rocsparse_index_base_b.num_named_barrier, 0
	.set _ZN9rocsparseL23gebsrmvn_general_kernelILj1024ELj32EdEEvi20rocsparse_direction_NS_24const_host_device_scalarIT1_EEPKiS6_PKS3_iiS8_S4_PS3_21rocsparse_index_base_b.private_seg_size, 0
	.set _ZN9rocsparseL23gebsrmvn_general_kernelILj1024ELj32EdEEvi20rocsparse_direction_NS_24const_host_device_scalarIT1_EEPKiS6_PKS3_iiS8_S4_PS3_21rocsparse_index_base_b.uses_vcc, 1
	.set _ZN9rocsparseL23gebsrmvn_general_kernelILj1024ELj32EdEEvi20rocsparse_direction_NS_24const_host_device_scalarIT1_EEPKiS6_PKS3_iiS8_S4_PS3_21rocsparse_index_base_b.uses_flat_scratch, 0
	.set _ZN9rocsparseL23gebsrmvn_general_kernelILj1024ELj32EdEEvi20rocsparse_direction_NS_24const_host_device_scalarIT1_EEPKiS6_PKS3_iiS8_S4_PS3_21rocsparse_index_base_b.has_dyn_sized_stack, 0
	.set _ZN9rocsparseL23gebsrmvn_general_kernelILj1024ELj32EdEEvi20rocsparse_direction_NS_24const_host_device_scalarIT1_EEPKiS6_PKS3_iiS8_S4_PS3_21rocsparse_index_base_b.has_recursion, 0
	.set _ZN9rocsparseL23gebsrmvn_general_kernelILj1024ELj32EdEEvi20rocsparse_direction_NS_24const_host_device_scalarIT1_EEPKiS6_PKS3_iiS8_S4_PS3_21rocsparse_index_base_b.has_indirect_call, 0
	.section	.AMDGPU.csdata,"",@progbits
; Kernel info:
; codeLenInByte = 1060
; TotalNumSgprs: 30
; NumVgprs: 20
; ScratchSize: 0
; MemoryBound: 0
; FloatMode: 240
; IeeeMode: 1
; LDSByteSize: 0 bytes/workgroup (compile time only)
; SGPRBlocks: 0
; VGPRBlocks: 2
; NumSGPRsForWavesPerEU: 30
; NumVGPRsForWavesPerEU: 20
; Occupancy: 16
; WaveLimiterHint : 1
; COMPUTE_PGM_RSRC2:SCRATCH_EN: 0
; COMPUTE_PGM_RSRC2:USER_SGPR: 6
; COMPUTE_PGM_RSRC2:TRAP_HANDLER: 0
; COMPUTE_PGM_RSRC2:TGID_X_EN: 1
; COMPUTE_PGM_RSRC2:TGID_Y_EN: 0
; COMPUTE_PGM_RSRC2:TGID_Z_EN: 0
; COMPUTE_PGM_RSRC2:TIDIG_COMP_CNT: 0
	.section	.text._ZN9rocsparseL23gebsrmvn_general_kernelILj64ELj2E21rocsparse_complex_numIfEEEvi20rocsparse_direction_NS_24const_host_device_scalarIT1_EEPKiS8_PKS5_iiSA_S6_PS5_21rocsparse_index_base_b,"axG",@progbits,_ZN9rocsparseL23gebsrmvn_general_kernelILj64ELj2E21rocsparse_complex_numIfEEEvi20rocsparse_direction_NS_24const_host_device_scalarIT1_EEPKiS8_PKS5_iiSA_S6_PS5_21rocsparse_index_base_b,comdat
	.globl	_ZN9rocsparseL23gebsrmvn_general_kernelILj64ELj2E21rocsparse_complex_numIfEEEvi20rocsparse_direction_NS_24const_host_device_scalarIT1_EEPKiS8_PKS5_iiSA_S6_PS5_21rocsparse_index_base_b ; -- Begin function _ZN9rocsparseL23gebsrmvn_general_kernelILj64ELj2E21rocsparse_complex_numIfEEEvi20rocsparse_direction_NS_24const_host_device_scalarIT1_EEPKiS8_PKS5_iiSA_S6_PS5_21rocsparse_index_base_b
	.p2align	8
	.type	_ZN9rocsparseL23gebsrmvn_general_kernelILj64ELj2E21rocsparse_complex_numIfEEEvi20rocsparse_direction_NS_24const_host_device_scalarIT1_EEPKiS8_PKS5_iiSA_S6_PS5_21rocsparse_index_base_b,@function
_ZN9rocsparseL23gebsrmvn_general_kernelILj64ELj2E21rocsparse_complex_numIfEEEvi20rocsparse_direction_NS_24const_host_device_scalarIT1_EEPKiS8_PKS5_iiSA_S6_PS5_21rocsparse_index_base_b: ; @_ZN9rocsparseL23gebsrmvn_general_kernelILj64ELj2E21rocsparse_complex_numIfEEEvi20rocsparse_direction_NS_24const_host_device_scalarIT1_EEPKiS8_PKS5_iiSA_S6_PS5_21rocsparse_index_base_b
; %bb.0:
	s_clause 0x2
	s_load_dwordx2 s[12:13], s[4:5], 0x48
	s_load_dwordx2 s[0:1], s[4:5], 0x8
	;; [unrolled: 1-line block ×3, first 2 shown]
	s_add_u32 s7, s4, 8
	s_addc_u32 s8, s5, 0
	s_add_u32 s9, s4, 56
	s_addc_u32 s10, s5, 0
	s_waitcnt lgkmcnt(0)
	s_bitcmp1_b32 s13, 0
	s_cselect_b32 s0, s7, s0
	s_cselect_b32 s1, s8, s1
	v_mov_b32_e32 v1, s0
	v_mov_b32_e32 v2, s1
	s_cselect_b32 s0, s9, s2
	s_cselect_b32 s1, s10, s3
	v_mov_b32_e32 v3, s0
	v_mov_b32_e32 v4, s1
	flat_load_dwordx2 v[1:2], v[1:2]
	flat_load_dwordx2 v[3:4], v[3:4]
	s_waitcnt vmcnt(1) lgkmcnt(1)
	v_cmp_eq_f32_e32 vcc_lo, 0, v1
	v_cmp_eq_f32_e64 s0, 0, v2
	s_and_b32 s2, vcc_lo, s0
	s_mov_b32 s0, -1
	s_and_saveexec_b32 s1, s2
	s_cbranch_execz .LBB10_2
; %bb.1:
	s_waitcnt vmcnt(0) lgkmcnt(0)
	v_cmp_neq_f32_e32 vcc_lo, 1.0, v3
	v_cmp_neq_f32_e64 s0, 0, v4
	s_or_b32 s0, vcc_lo, s0
	s_orn2_b32 s0, s0, exec_lo
.LBB10_2:
	s_or_b32 exec_lo, exec_lo, s1
	s_and_saveexec_b32 s1, s0
	s_cbranch_execz .LBB10_22
; %bb.3:
	s_load_dwordx2 s[14:15], s[4:5], 0x28
	v_lshrrev_b32_e32 v5, 1, v0
	s_waitcnt lgkmcnt(0)
	v_cmp_gt_i32_e32 vcc_lo, s14, v5
	s_and_b32 exec_lo, exec_lo, vcc_lo
	s_cbranch_execz .LBB10_22
; %bb.4:
	s_clause 0x1
	s_load_dwordx4 s[8:11], s[4:5], 0x10
	s_load_dword s20, s[4:5], 0x4
	s_ashr_i32 s7, s6, 31
	v_mbcnt_lo_u32_b32 v8, -1, 0
	s_lshl_b64 s[0:1], s[6:7], 2
	v_and_b32_e32 v0, 1, v0
	s_mov_b32 s7, 0
	s_mul_i32 s6, s14, s6
	v_xor_b32_e32 v9, 1, v8
	s_mul_i32 s23, s15, s14
	v_cmp_gt_i32_e32 vcc_lo, 32, v9
	s_waitcnt lgkmcnt(0)
	s_add_u32 s0, s8, s0
	s_addc_u32 s1, s9, s1
	s_load_dwordx2 s[2:3], s[0:1], 0x0
	s_clause 0x2
	s_load_dwordx2 s[8:9], s[4:5], 0x20
	s_load_dwordx2 s[16:17], s[4:5], 0x30
	;; [unrolled: 1-line block ×3, first 2 shown]
	v_cmp_gt_i32_e64 s0, s15, v0
	v_cmp_eq_u32_e64 s1, 1, v0
	s_waitcnt lgkmcnt(0)
	s_sub_i32 s13, s2, s12
	s_sub_i32 s18, s3, s12
	v_mad_u64_u32 v[6:7], null, s14, s13, v[5:6]
	v_cndmask_b32_e32 v7, v8, v9, vcc_lo
	s_cmp_lt_i32 s2, s3
	s_waitcnt vmcnt(0)
	v_cmp_eq_f32_e32 vcc_lo, 0, v3
	v_cmp_eq_f32_e64 s2, 0, v4
	s_cselect_b32 s19, -1, 0
	v_lshlrev_b32_e32 v10, 2, v7
	v_mul_lo_u32 v11, s15, v6
	s_cmp_lg_u32 s20, 0
	s_cselect_b32 s20, -1, 0
	s_and_b32 s21, vcc_lo, s2
	s_lshl_b32 s22, s15, 5
	s_branch .LBB10_6
.LBB10_5:                               ;   in Loop: Header=BB10_6 Depth=1
	s_or_b32 exec_lo, exec_lo, s2
	v_add_nc_u32_e32 v5, 32, v5
	v_add_nc_u32_e32 v11, s22, v11
	v_cmp_le_i32_e32 vcc_lo, s14, v5
	s_or_b32 s7, vcc_lo, s7
	s_andn2_b32 exec_lo, exec_lo, s7
	s_cbranch_execz .LBB10_22
.LBB10_6:                               ; =>This Loop Header: Depth=1
                                        ;     Child Loop BB10_10 Depth 2
                                        ;       Child Loop BB10_13 Depth 3
	v_mov_b32_e32 v8, 0
	v_mov_b32_e32 v9, 0
	s_andn2_b32 vcc_lo, exec_lo, s19
	s_cbranch_vccnz .LBB10_17
; %bb.7:                                ;   in Loop: Header=BB10_6 Depth=1
	v_mov_b32_e32 v8, 0
	v_mov_b32_e32 v12, v11
	;; [unrolled: 1-line block ×3, first 2 shown]
	s_mov_b32 s2, s13
	s_branch .LBB10_10
.LBB10_8:                               ;   in Loop: Header=BB10_10 Depth=2
	s_inst_prefetch 0x2
	s_or_b32 exec_lo, exec_lo, s25
.LBB10_9:                               ;   in Loop: Header=BB10_10 Depth=2
	s_or_b32 exec_lo, exec_lo, s24
	v_add_nc_u32_e32 v12, s23, v12
	s_add_i32 s2, s2, 1
	s_cmp_ge_i32 s2, s18
	s_cbranch_scc1 .LBB10_17
.LBB10_10:                              ;   Parent Loop BB10_6 Depth=1
                                        ; =>  This Loop Header: Depth=2
                                        ;       Child Loop BB10_13 Depth 3
	s_and_saveexec_b32 s24, s0
	s_cbranch_execz .LBB10_9
; %bb.11:                               ;   in Loop: Header=BB10_10 Depth=2
	s_ashr_i32 s3, s2, 31
	v_mov_b32_e32 v13, v0
	s_lshl_b64 s[26:27], s[2:3], 2
	s_mov_b32 s25, 0
	s_add_u32 s26, s10, s26
	s_addc_u32 s27, s11, s27
	s_load_dword s3, s[26:27], 0x0
	s_waitcnt lgkmcnt(0)
	s_sub_i32 s26, s3, s12
	s_mul_i32 s3, s2, s15
	s_mul_i32 s26, s26, s15
	s_inst_prefetch 0x1
	s_branch .LBB10_13
	.p2align	6
.LBB10_12:                              ;   in Loop: Header=BB10_13 Depth=3
	v_add_nc_u32_e32 v14, s26, v13
	v_ashrrev_i32_e32 v7, 31, v6
	v_add_nc_u32_e32 v13, 2, v13
	v_ashrrev_i32_e32 v15, 31, v14
	v_lshlrev_b64 v[6:7], 3, v[6:7]
	v_lshlrev_b64 v[14:15], 3, v[14:15]
	v_add_co_u32 v6, vcc_lo, s8, v6
	v_add_co_ci_u32_e64 v7, null, s9, v7, vcc_lo
	v_add_co_u32 v14, vcc_lo, s16, v14
	v_add_co_ci_u32_e64 v15, null, s17, v15, vcc_lo
	v_cmp_le_i32_e32 vcc_lo, s15, v13
	global_load_dwordx2 v[6:7], v[6:7], off
	global_load_dwordx2 v[14:15], v[14:15], off
	s_or_b32 s25, vcc_lo, s25
	s_waitcnt vmcnt(0)
	v_fmac_f32_e32 v9, v6, v14
	v_fmac_f32_e32 v8, v7, v14
	v_fma_f32 v9, -v7, v15, v9
	v_fmac_f32_e32 v8, v6, v15
	s_andn2_b32 exec_lo, exec_lo, s25
	s_cbranch_execz .LBB10_8
.LBB10_13:                              ;   Parent Loop BB10_6 Depth=1
                                        ;     Parent Loop BB10_10 Depth=2
                                        ; =>    This Inner Loop Header: Depth=3
	s_and_b32 vcc_lo, exec_lo, s20
	s_cbranch_vccz .LBB10_15
; %bb.14:                               ;   in Loop: Header=BB10_13 Depth=3
	v_add_nc_u32_e32 v6, s3, v13
	v_mad_u64_u32 v[6:7], null, v6, s14, v[5:6]
	s_cbranch_execnz .LBB10_12
	s_branch .LBB10_16
.LBB10_15:                              ;   in Loop: Header=BB10_13 Depth=3
                                        ; implicit-def: $vgpr6
.LBB10_16:                              ;   in Loop: Header=BB10_13 Depth=3
	v_add_nc_u32_e32 v6, v12, v13
	s_branch .LBB10_12
.LBB10_17:                              ;   in Loop: Header=BB10_6 Depth=1
	s_waitcnt lgkmcnt(1)
	ds_bpermute_b32 v6, v10, v9
	s_waitcnt lgkmcnt(1)
	ds_bpermute_b32 v7, v10, v8
	s_and_saveexec_b32 s2, s1
	s_cbranch_execz .LBB10_5
; %bb.18:                               ;   in Loop: Header=BB10_6 Depth=1
	s_waitcnt lgkmcnt(0)
	v_add_f32_e32 v7, v8, v7
	v_add_f32_e32 v9, v9, v6
	v_add_nc_u32_e32 v8, s6, v5
	v_mul_f32_e64 v6, v7, -v2
	v_mul_f32_e32 v7, v1, v7
	v_fmac_f32_e32 v6, v1, v9
	v_fmac_f32_e32 v7, v2, v9
	v_ashrrev_i32_e32 v9, 31, v8
	s_and_saveexec_b32 s3, s21
	s_xor_b32 s3, exec_lo, s3
	s_cbranch_execz .LBB10_20
; %bb.19:                               ;   in Loop: Header=BB10_6 Depth=1
	v_lshlrev_b64 v[8:9], 3, v[8:9]
	v_add_co_u32 v8, vcc_lo, s4, v8
	v_add_co_ci_u32_e64 v9, null, s5, v9, vcc_lo
	global_store_dwordx2 v[8:9], v[6:7], off
                                        ; implicit-def: $vgpr8
                                        ; implicit-def: $vgpr6
.LBB10_20:                              ;   in Loop: Header=BB10_6 Depth=1
	s_andn2_saveexec_b32 s3, s3
	s_cbranch_execz .LBB10_5
; %bb.21:                               ;   in Loop: Header=BB10_6 Depth=1
	v_lshlrev_b64 v[8:9], 3, v[8:9]
	v_add_co_u32 v8, vcc_lo, s4, v8
	v_add_co_ci_u32_e64 v9, null, s5, v9, vcc_lo
	global_load_dwordx2 v[12:13], v[8:9], off
	s_waitcnt vmcnt(0)
	v_fmac_f32_e32 v6, v3, v12
	v_fmac_f32_e32 v7, v4, v12
	v_fma_f32 v6, -v4, v13, v6
	v_fmac_f32_e32 v7, v3, v13
	global_store_dwordx2 v[8:9], v[6:7], off
	s_branch .LBB10_5
.LBB10_22:
	s_endpgm
	.section	.rodata,"a",@progbits
	.p2align	6, 0x0
	.amdhsa_kernel _ZN9rocsparseL23gebsrmvn_general_kernelILj64ELj2E21rocsparse_complex_numIfEEEvi20rocsparse_direction_NS_24const_host_device_scalarIT1_EEPKiS8_PKS5_iiSA_S6_PS5_21rocsparse_index_base_b
		.amdhsa_group_segment_fixed_size 0
		.amdhsa_private_segment_fixed_size 0
		.amdhsa_kernarg_size 80
		.amdhsa_user_sgpr_count 6
		.amdhsa_user_sgpr_private_segment_buffer 1
		.amdhsa_user_sgpr_dispatch_ptr 0
		.amdhsa_user_sgpr_queue_ptr 0
		.amdhsa_user_sgpr_kernarg_segment_ptr 1
		.amdhsa_user_sgpr_dispatch_id 0
		.amdhsa_user_sgpr_flat_scratch_init 0
		.amdhsa_user_sgpr_private_segment_size 0
		.amdhsa_wavefront_size32 1
		.amdhsa_uses_dynamic_stack 0
		.amdhsa_system_sgpr_private_segment_wavefront_offset 0
		.amdhsa_system_sgpr_workgroup_id_x 1
		.amdhsa_system_sgpr_workgroup_id_y 0
		.amdhsa_system_sgpr_workgroup_id_z 0
		.amdhsa_system_sgpr_workgroup_info 0
		.amdhsa_system_vgpr_workitem_id 0
		.amdhsa_next_free_vgpr 16
		.amdhsa_next_free_sgpr 28
		.amdhsa_reserve_vcc 1
		.amdhsa_reserve_flat_scratch 0
		.amdhsa_float_round_mode_32 0
		.amdhsa_float_round_mode_16_64 0
		.amdhsa_float_denorm_mode_32 3
		.amdhsa_float_denorm_mode_16_64 3
		.amdhsa_dx10_clamp 1
		.amdhsa_ieee_mode 1
		.amdhsa_fp16_overflow 0
		.amdhsa_workgroup_processor_mode 1
		.amdhsa_memory_ordered 1
		.amdhsa_forward_progress 1
		.amdhsa_shared_vgpr_count 0
		.amdhsa_exception_fp_ieee_invalid_op 0
		.amdhsa_exception_fp_denorm_src 0
		.amdhsa_exception_fp_ieee_div_zero 0
		.amdhsa_exception_fp_ieee_overflow 0
		.amdhsa_exception_fp_ieee_underflow 0
		.amdhsa_exception_fp_ieee_inexact 0
		.amdhsa_exception_int_div_zero 0
	.end_amdhsa_kernel
	.section	.text._ZN9rocsparseL23gebsrmvn_general_kernelILj64ELj2E21rocsparse_complex_numIfEEEvi20rocsparse_direction_NS_24const_host_device_scalarIT1_EEPKiS8_PKS5_iiSA_S6_PS5_21rocsparse_index_base_b,"axG",@progbits,_ZN9rocsparseL23gebsrmvn_general_kernelILj64ELj2E21rocsparse_complex_numIfEEEvi20rocsparse_direction_NS_24const_host_device_scalarIT1_EEPKiS8_PKS5_iiSA_S6_PS5_21rocsparse_index_base_b,comdat
.Lfunc_end10:
	.size	_ZN9rocsparseL23gebsrmvn_general_kernelILj64ELj2E21rocsparse_complex_numIfEEEvi20rocsparse_direction_NS_24const_host_device_scalarIT1_EEPKiS8_PKS5_iiSA_S6_PS5_21rocsparse_index_base_b, .Lfunc_end10-_ZN9rocsparseL23gebsrmvn_general_kernelILj64ELj2E21rocsparse_complex_numIfEEEvi20rocsparse_direction_NS_24const_host_device_scalarIT1_EEPKiS8_PKS5_iiSA_S6_PS5_21rocsparse_index_base_b
                                        ; -- End function
	.set _ZN9rocsparseL23gebsrmvn_general_kernelILj64ELj2E21rocsparse_complex_numIfEEEvi20rocsparse_direction_NS_24const_host_device_scalarIT1_EEPKiS8_PKS5_iiSA_S6_PS5_21rocsparse_index_base_b.num_vgpr, 16
	.set _ZN9rocsparseL23gebsrmvn_general_kernelILj64ELj2E21rocsparse_complex_numIfEEEvi20rocsparse_direction_NS_24const_host_device_scalarIT1_EEPKiS8_PKS5_iiSA_S6_PS5_21rocsparse_index_base_b.num_agpr, 0
	.set _ZN9rocsparseL23gebsrmvn_general_kernelILj64ELj2E21rocsparse_complex_numIfEEEvi20rocsparse_direction_NS_24const_host_device_scalarIT1_EEPKiS8_PKS5_iiSA_S6_PS5_21rocsparse_index_base_b.numbered_sgpr, 28
	.set _ZN9rocsparseL23gebsrmvn_general_kernelILj64ELj2E21rocsparse_complex_numIfEEEvi20rocsparse_direction_NS_24const_host_device_scalarIT1_EEPKiS8_PKS5_iiSA_S6_PS5_21rocsparse_index_base_b.num_named_barrier, 0
	.set _ZN9rocsparseL23gebsrmvn_general_kernelILj64ELj2E21rocsparse_complex_numIfEEEvi20rocsparse_direction_NS_24const_host_device_scalarIT1_EEPKiS8_PKS5_iiSA_S6_PS5_21rocsparse_index_base_b.private_seg_size, 0
	.set _ZN9rocsparseL23gebsrmvn_general_kernelILj64ELj2E21rocsparse_complex_numIfEEEvi20rocsparse_direction_NS_24const_host_device_scalarIT1_EEPKiS8_PKS5_iiSA_S6_PS5_21rocsparse_index_base_b.uses_vcc, 1
	.set _ZN9rocsparseL23gebsrmvn_general_kernelILj64ELj2E21rocsparse_complex_numIfEEEvi20rocsparse_direction_NS_24const_host_device_scalarIT1_EEPKiS8_PKS5_iiSA_S6_PS5_21rocsparse_index_base_b.uses_flat_scratch, 0
	.set _ZN9rocsparseL23gebsrmvn_general_kernelILj64ELj2E21rocsparse_complex_numIfEEEvi20rocsparse_direction_NS_24const_host_device_scalarIT1_EEPKiS8_PKS5_iiSA_S6_PS5_21rocsparse_index_base_b.has_dyn_sized_stack, 0
	.set _ZN9rocsparseL23gebsrmvn_general_kernelILj64ELj2E21rocsparse_complex_numIfEEEvi20rocsparse_direction_NS_24const_host_device_scalarIT1_EEPKiS8_PKS5_iiSA_S6_PS5_21rocsparse_index_base_b.has_recursion, 0
	.set _ZN9rocsparseL23gebsrmvn_general_kernelILj64ELj2E21rocsparse_complex_numIfEEEvi20rocsparse_direction_NS_24const_host_device_scalarIT1_EEPKiS8_PKS5_iiSA_S6_PS5_21rocsparse_index_base_b.has_indirect_call, 0
	.section	.AMDGPU.csdata,"",@progbits
; Kernel info:
; codeLenInByte = 928
; TotalNumSgprs: 30
; NumVgprs: 16
; ScratchSize: 0
; MemoryBound: 0
; FloatMode: 240
; IeeeMode: 1
; LDSByteSize: 0 bytes/workgroup (compile time only)
; SGPRBlocks: 0
; VGPRBlocks: 1
; NumSGPRsForWavesPerEU: 30
; NumVGPRsForWavesPerEU: 16
; Occupancy: 16
; WaveLimiterHint : 1
; COMPUTE_PGM_RSRC2:SCRATCH_EN: 0
; COMPUTE_PGM_RSRC2:USER_SGPR: 6
; COMPUTE_PGM_RSRC2:TRAP_HANDLER: 0
; COMPUTE_PGM_RSRC2:TGID_X_EN: 1
; COMPUTE_PGM_RSRC2:TGID_Y_EN: 0
; COMPUTE_PGM_RSRC2:TGID_Z_EN: 0
; COMPUTE_PGM_RSRC2:TIDIG_COMP_CNT: 0
	.section	.text._ZN9rocsparseL23gebsrmvn_general_kernelILj128ELj4E21rocsparse_complex_numIfEEEvi20rocsparse_direction_NS_24const_host_device_scalarIT1_EEPKiS8_PKS5_iiSA_S6_PS5_21rocsparse_index_base_b,"axG",@progbits,_ZN9rocsparseL23gebsrmvn_general_kernelILj128ELj4E21rocsparse_complex_numIfEEEvi20rocsparse_direction_NS_24const_host_device_scalarIT1_EEPKiS8_PKS5_iiSA_S6_PS5_21rocsparse_index_base_b,comdat
	.globl	_ZN9rocsparseL23gebsrmvn_general_kernelILj128ELj4E21rocsparse_complex_numIfEEEvi20rocsparse_direction_NS_24const_host_device_scalarIT1_EEPKiS8_PKS5_iiSA_S6_PS5_21rocsparse_index_base_b ; -- Begin function _ZN9rocsparseL23gebsrmvn_general_kernelILj128ELj4E21rocsparse_complex_numIfEEEvi20rocsparse_direction_NS_24const_host_device_scalarIT1_EEPKiS8_PKS5_iiSA_S6_PS5_21rocsparse_index_base_b
	.p2align	8
	.type	_ZN9rocsparseL23gebsrmvn_general_kernelILj128ELj4E21rocsparse_complex_numIfEEEvi20rocsparse_direction_NS_24const_host_device_scalarIT1_EEPKiS8_PKS5_iiSA_S6_PS5_21rocsparse_index_base_b,@function
_ZN9rocsparseL23gebsrmvn_general_kernelILj128ELj4E21rocsparse_complex_numIfEEEvi20rocsparse_direction_NS_24const_host_device_scalarIT1_EEPKiS8_PKS5_iiSA_S6_PS5_21rocsparse_index_base_b: ; @_ZN9rocsparseL23gebsrmvn_general_kernelILj128ELj4E21rocsparse_complex_numIfEEEvi20rocsparse_direction_NS_24const_host_device_scalarIT1_EEPKiS8_PKS5_iiSA_S6_PS5_21rocsparse_index_base_b
; %bb.0:
	s_clause 0x2
	s_load_dwordx2 s[12:13], s[4:5], 0x48
	s_load_dwordx2 s[0:1], s[4:5], 0x8
	;; [unrolled: 1-line block ×3, first 2 shown]
	s_add_u32 s7, s4, 8
	s_addc_u32 s8, s5, 0
	s_add_u32 s9, s4, 56
	s_addc_u32 s10, s5, 0
	s_waitcnt lgkmcnt(0)
	s_bitcmp1_b32 s13, 0
	s_cselect_b32 s0, s7, s0
	s_cselect_b32 s1, s8, s1
	v_mov_b32_e32 v1, s0
	v_mov_b32_e32 v2, s1
	s_cselect_b32 s0, s9, s2
	s_cselect_b32 s1, s10, s3
	v_mov_b32_e32 v3, s0
	v_mov_b32_e32 v4, s1
	flat_load_dwordx2 v[1:2], v[1:2]
	flat_load_dwordx2 v[3:4], v[3:4]
	s_waitcnt vmcnt(1) lgkmcnt(1)
	v_cmp_eq_f32_e32 vcc_lo, 0, v1
	v_cmp_eq_f32_e64 s0, 0, v2
	s_and_b32 s2, vcc_lo, s0
	s_mov_b32 s0, -1
	s_and_saveexec_b32 s1, s2
	s_cbranch_execz .LBB11_2
; %bb.1:
	s_waitcnt vmcnt(0) lgkmcnt(0)
	v_cmp_neq_f32_e32 vcc_lo, 1.0, v3
	v_cmp_neq_f32_e64 s0, 0, v4
	s_or_b32 s0, vcc_lo, s0
	s_orn2_b32 s0, s0, exec_lo
.LBB11_2:
	s_or_b32 exec_lo, exec_lo, s1
	s_and_saveexec_b32 s1, s0
	s_cbranch_execz .LBB11_22
; %bb.3:
	s_load_dwordx2 s[14:15], s[4:5], 0x28
	v_lshrrev_b32_e32 v5, 2, v0
	s_waitcnt lgkmcnt(0)
	v_cmp_gt_i32_e32 vcc_lo, s14, v5
	s_and_b32 exec_lo, exec_lo, vcc_lo
	s_cbranch_execz .LBB11_22
; %bb.4:
	s_clause 0x1
	s_load_dwordx4 s[8:11], s[4:5], 0x10
	s_load_dword s20, s[4:5], 0x4
	s_ashr_i32 s7, s6, 31
	v_mbcnt_lo_u32_b32 v8, -1, 0
	s_lshl_b64 s[0:1], s[6:7], 2
	v_and_b32_e32 v0, 3, v0
	s_mov_b32 s7, 0
	s_mul_i32 s6, s14, s6
	v_xor_b32_e32 v6, 2, v8
	v_xor_b32_e32 v9, 1, v8
	s_mul_i32 s23, s15, s14
	v_cmp_gt_i32_e32 vcc_lo, 32, v6
	v_cndmask_b32_e32 v10, v8, v6, vcc_lo
	v_cmp_gt_i32_e32 vcc_lo, 32, v9
	s_waitcnt lgkmcnt(0)
	s_add_u32 s0, s8, s0
	s_addc_u32 s1, s9, s1
	v_lshlrev_b32_e32 v10, 2, v10
	s_load_dwordx2 s[2:3], s[0:1], 0x0
	s_clause 0x2
	s_load_dwordx2 s[8:9], s[4:5], 0x20
	s_load_dwordx2 s[16:17], s[4:5], 0x30
	;; [unrolled: 1-line block ×3, first 2 shown]
	v_cmp_gt_i32_e64 s0, s15, v0
	v_cmp_eq_u32_e64 s1, 3, v0
	s_waitcnt lgkmcnt(0)
	s_sub_i32 s13, s2, s12
	s_sub_i32 s18, s3, s12
	v_mad_u64_u32 v[6:7], null, s14, s13, v[5:6]
	v_cndmask_b32_e32 v7, v8, v9, vcc_lo
	s_cmp_lt_i32 s2, s3
	s_waitcnt vmcnt(0)
	v_cmp_eq_f32_e32 vcc_lo, 0, v3
	v_cmp_eq_f32_e64 s2, 0, v4
	s_cselect_b32 s19, -1, 0
	v_lshlrev_b32_e32 v11, 2, v7
	v_mul_lo_u32 v12, s15, v6
	s_cmp_lg_u32 s20, 0
	s_cselect_b32 s20, -1, 0
	s_and_b32 s21, vcc_lo, s2
	s_lshl_b32 s22, s15, 5
	s_branch .LBB11_6
.LBB11_5:                               ;   in Loop: Header=BB11_6 Depth=1
	s_or_b32 exec_lo, exec_lo, s2
	v_add_nc_u32_e32 v5, 32, v5
	v_add_nc_u32_e32 v12, s22, v12
	v_cmp_le_i32_e32 vcc_lo, s14, v5
	s_or_b32 s7, vcc_lo, s7
	s_andn2_b32 exec_lo, exec_lo, s7
	s_cbranch_execz .LBB11_22
.LBB11_6:                               ; =>This Loop Header: Depth=1
                                        ;     Child Loop BB11_10 Depth 2
                                        ;       Child Loop BB11_13 Depth 3
	v_mov_b32_e32 v8, 0
	s_waitcnt lgkmcnt(0)
	v_mov_b32_e32 v9, 0
	s_andn2_b32 vcc_lo, exec_lo, s19
	s_cbranch_vccnz .LBB11_17
; %bb.7:                                ;   in Loop: Header=BB11_6 Depth=1
	v_mov_b32_e32 v8, 0
	v_mov_b32_e32 v13, v12
	;; [unrolled: 1-line block ×3, first 2 shown]
	s_mov_b32 s2, s13
	s_branch .LBB11_10
.LBB11_8:                               ;   in Loop: Header=BB11_10 Depth=2
	s_inst_prefetch 0x2
	s_or_b32 exec_lo, exec_lo, s25
.LBB11_9:                               ;   in Loop: Header=BB11_10 Depth=2
	s_or_b32 exec_lo, exec_lo, s24
	v_add_nc_u32_e32 v13, s23, v13
	s_add_i32 s2, s2, 1
	s_cmp_ge_i32 s2, s18
	s_cbranch_scc1 .LBB11_17
.LBB11_10:                              ;   Parent Loop BB11_6 Depth=1
                                        ; =>  This Loop Header: Depth=2
                                        ;       Child Loop BB11_13 Depth 3
	s_and_saveexec_b32 s24, s0
	s_cbranch_execz .LBB11_9
; %bb.11:                               ;   in Loop: Header=BB11_10 Depth=2
	s_ashr_i32 s3, s2, 31
	v_mov_b32_e32 v14, v0
	s_lshl_b64 s[26:27], s[2:3], 2
	s_mov_b32 s25, 0
	s_add_u32 s26, s10, s26
	s_addc_u32 s27, s11, s27
	s_load_dword s3, s[26:27], 0x0
	s_waitcnt lgkmcnt(0)
	s_sub_i32 s26, s3, s12
	s_mul_i32 s3, s2, s15
	s_mul_i32 s26, s26, s15
	s_inst_prefetch 0x1
	s_branch .LBB11_13
	.p2align	6
.LBB11_12:                              ;   in Loop: Header=BB11_13 Depth=3
	v_add_nc_u32_e32 v15, s26, v14
	v_ashrrev_i32_e32 v7, 31, v6
	v_add_nc_u32_e32 v14, 4, v14
	v_ashrrev_i32_e32 v16, 31, v15
	v_lshlrev_b64 v[6:7], 3, v[6:7]
	v_lshlrev_b64 v[15:16], 3, v[15:16]
	v_add_co_u32 v6, vcc_lo, s8, v6
	v_add_co_ci_u32_e64 v7, null, s9, v7, vcc_lo
	v_add_co_u32 v15, vcc_lo, s16, v15
	v_add_co_ci_u32_e64 v16, null, s17, v16, vcc_lo
	v_cmp_le_i32_e32 vcc_lo, s15, v14
	global_load_dwordx2 v[6:7], v[6:7], off
	global_load_dwordx2 v[15:16], v[15:16], off
	s_or_b32 s25, vcc_lo, s25
	s_waitcnt vmcnt(0)
	v_fmac_f32_e32 v9, v6, v15
	v_fmac_f32_e32 v8, v7, v15
	v_fma_f32 v9, -v7, v16, v9
	v_fmac_f32_e32 v8, v6, v16
	s_andn2_b32 exec_lo, exec_lo, s25
	s_cbranch_execz .LBB11_8
.LBB11_13:                              ;   Parent Loop BB11_6 Depth=1
                                        ;     Parent Loop BB11_10 Depth=2
                                        ; =>    This Inner Loop Header: Depth=3
	s_and_b32 vcc_lo, exec_lo, s20
	s_cbranch_vccz .LBB11_15
; %bb.14:                               ;   in Loop: Header=BB11_13 Depth=3
	v_add_nc_u32_e32 v6, s3, v14
	v_mad_u64_u32 v[6:7], null, v6, s14, v[5:6]
	s_cbranch_execnz .LBB11_12
	s_branch .LBB11_16
.LBB11_15:                              ;   in Loop: Header=BB11_13 Depth=3
                                        ; implicit-def: $vgpr6
.LBB11_16:                              ;   in Loop: Header=BB11_13 Depth=3
	v_add_nc_u32_e32 v6, v13, v14
	s_branch .LBB11_12
.LBB11_17:                              ;   in Loop: Header=BB11_6 Depth=1
	ds_bpermute_b32 v6, v10, v9
	ds_bpermute_b32 v7, v10, v8
	s_waitcnt lgkmcnt(1)
	v_add_f32_e32 v6, v9, v6
	s_waitcnt lgkmcnt(0)
	v_add_f32_e32 v8, v8, v7
	ds_bpermute_b32 v7, v11, v6
	ds_bpermute_b32 v9, v11, v8
	s_and_saveexec_b32 s2, s1
	s_cbranch_execz .LBB11_5
; %bb.18:                               ;   in Loop: Header=BB11_6 Depth=1
	s_waitcnt lgkmcnt(0)
	v_add_f32_e32 v8, v8, v9
	v_add_f32_e32 v9, v6, v7
	v_mul_f32_e64 v6, v8, -v2
	v_mul_f32_e32 v7, v1, v8
	v_add_nc_u32_e32 v8, s6, v5
	v_fmac_f32_e32 v6, v1, v9
	v_fmac_f32_e32 v7, v2, v9
	v_ashrrev_i32_e32 v9, 31, v8
	s_and_saveexec_b32 s3, s21
	s_xor_b32 s3, exec_lo, s3
	s_cbranch_execz .LBB11_20
; %bb.19:                               ;   in Loop: Header=BB11_6 Depth=1
	v_lshlrev_b64 v[8:9], 3, v[8:9]
	v_add_co_u32 v8, vcc_lo, s4, v8
	v_add_co_ci_u32_e64 v9, null, s5, v9, vcc_lo
	global_store_dwordx2 v[8:9], v[6:7], off
                                        ; implicit-def: $vgpr8
                                        ; implicit-def: $vgpr6
.LBB11_20:                              ;   in Loop: Header=BB11_6 Depth=1
	s_andn2_saveexec_b32 s3, s3
	s_cbranch_execz .LBB11_5
; %bb.21:                               ;   in Loop: Header=BB11_6 Depth=1
	v_lshlrev_b64 v[8:9], 3, v[8:9]
	v_add_co_u32 v8, vcc_lo, s4, v8
	v_add_co_ci_u32_e64 v9, null, s5, v9, vcc_lo
	global_load_dwordx2 v[13:14], v[8:9], off
	s_waitcnt vmcnt(0)
	v_fmac_f32_e32 v6, v3, v13
	v_fmac_f32_e32 v7, v4, v13
	v_fma_f32 v6, -v4, v14, v6
	v_fmac_f32_e32 v7, v3, v14
	global_store_dwordx2 v[8:9], v[6:7], off
	s_branch .LBB11_5
.LBB11_22:
	s_endpgm
	.section	.rodata,"a",@progbits
	.p2align	6, 0x0
	.amdhsa_kernel _ZN9rocsparseL23gebsrmvn_general_kernelILj128ELj4E21rocsparse_complex_numIfEEEvi20rocsparse_direction_NS_24const_host_device_scalarIT1_EEPKiS8_PKS5_iiSA_S6_PS5_21rocsparse_index_base_b
		.amdhsa_group_segment_fixed_size 0
		.amdhsa_private_segment_fixed_size 0
		.amdhsa_kernarg_size 80
		.amdhsa_user_sgpr_count 6
		.amdhsa_user_sgpr_private_segment_buffer 1
		.amdhsa_user_sgpr_dispatch_ptr 0
		.amdhsa_user_sgpr_queue_ptr 0
		.amdhsa_user_sgpr_kernarg_segment_ptr 1
		.amdhsa_user_sgpr_dispatch_id 0
		.amdhsa_user_sgpr_flat_scratch_init 0
		.amdhsa_user_sgpr_private_segment_size 0
		.amdhsa_wavefront_size32 1
		.amdhsa_uses_dynamic_stack 0
		.amdhsa_system_sgpr_private_segment_wavefront_offset 0
		.amdhsa_system_sgpr_workgroup_id_x 1
		.amdhsa_system_sgpr_workgroup_id_y 0
		.amdhsa_system_sgpr_workgroup_id_z 0
		.amdhsa_system_sgpr_workgroup_info 0
		.amdhsa_system_vgpr_workitem_id 0
		.amdhsa_next_free_vgpr 17
		.amdhsa_next_free_sgpr 28
		.amdhsa_reserve_vcc 1
		.amdhsa_reserve_flat_scratch 0
		.amdhsa_float_round_mode_32 0
		.amdhsa_float_round_mode_16_64 0
		.amdhsa_float_denorm_mode_32 3
		.amdhsa_float_denorm_mode_16_64 3
		.amdhsa_dx10_clamp 1
		.amdhsa_ieee_mode 1
		.amdhsa_fp16_overflow 0
		.amdhsa_workgroup_processor_mode 1
		.amdhsa_memory_ordered 1
		.amdhsa_forward_progress 1
		.amdhsa_shared_vgpr_count 0
		.amdhsa_exception_fp_ieee_invalid_op 0
		.amdhsa_exception_fp_denorm_src 0
		.amdhsa_exception_fp_ieee_div_zero 0
		.amdhsa_exception_fp_ieee_overflow 0
		.amdhsa_exception_fp_ieee_underflow 0
		.amdhsa_exception_fp_ieee_inexact 0
		.amdhsa_exception_int_div_zero 0
	.end_amdhsa_kernel
	.section	.text._ZN9rocsparseL23gebsrmvn_general_kernelILj128ELj4E21rocsparse_complex_numIfEEEvi20rocsparse_direction_NS_24const_host_device_scalarIT1_EEPKiS8_PKS5_iiSA_S6_PS5_21rocsparse_index_base_b,"axG",@progbits,_ZN9rocsparseL23gebsrmvn_general_kernelILj128ELj4E21rocsparse_complex_numIfEEEvi20rocsparse_direction_NS_24const_host_device_scalarIT1_EEPKiS8_PKS5_iiSA_S6_PS5_21rocsparse_index_base_b,comdat
.Lfunc_end11:
	.size	_ZN9rocsparseL23gebsrmvn_general_kernelILj128ELj4E21rocsparse_complex_numIfEEEvi20rocsparse_direction_NS_24const_host_device_scalarIT1_EEPKiS8_PKS5_iiSA_S6_PS5_21rocsparse_index_base_b, .Lfunc_end11-_ZN9rocsparseL23gebsrmvn_general_kernelILj128ELj4E21rocsparse_complex_numIfEEEvi20rocsparse_direction_NS_24const_host_device_scalarIT1_EEPKiS8_PKS5_iiSA_S6_PS5_21rocsparse_index_base_b
                                        ; -- End function
	.set _ZN9rocsparseL23gebsrmvn_general_kernelILj128ELj4E21rocsparse_complex_numIfEEEvi20rocsparse_direction_NS_24const_host_device_scalarIT1_EEPKiS8_PKS5_iiSA_S6_PS5_21rocsparse_index_base_b.num_vgpr, 17
	.set _ZN9rocsparseL23gebsrmvn_general_kernelILj128ELj4E21rocsparse_complex_numIfEEEvi20rocsparse_direction_NS_24const_host_device_scalarIT1_EEPKiS8_PKS5_iiSA_S6_PS5_21rocsparse_index_base_b.num_agpr, 0
	.set _ZN9rocsparseL23gebsrmvn_general_kernelILj128ELj4E21rocsparse_complex_numIfEEEvi20rocsparse_direction_NS_24const_host_device_scalarIT1_EEPKiS8_PKS5_iiSA_S6_PS5_21rocsparse_index_base_b.numbered_sgpr, 28
	.set _ZN9rocsparseL23gebsrmvn_general_kernelILj128ELj4E21rocsparse_complex_numIfEEEvi20rocsparse_direction_NS_24const_host_device_scalarIT1_EEPKiS8_PKS5_iiSA_S6_PS5_21rocsparse_index_base_b.num_named_barrier, 0
	.set _ZN9rocsparseL23gebsrmvn_general_kernelILj128ELj4E21rocsparse_complex_numIfEEEvi20rocsparse_direction_NS_24const_host_device_scalarIT1_EEPKiS8_PKS5_iiSA_S6_PS5_21rocsparse_index_base_b.private_seg_size, 0
	.set _ZN9rocsparseL23gebsrmvn_general_kernelILj128ELj4E21rocsparse_complex_numIfEEEvi20rocsparse_direction_NS_24const_host_device_scalarIT1_EEPKiS8_PKS5_iiSA_S6_PS5_21rocsparse_index_base_b.uses_vcc, 1
	.set _ZN9rocsparseL23gebsrmvn_general_kernelILj128ELj4E21rocsparse_complex_numIfEEEvi20rocsparse_direction_NS_24const_host_device_scalarIT1_EEPKiS8_PKS5_iiSA_S6_PS5_21rocsparse_index_base_b.uses_flat_scratch, 0
	.set _ZN9rocsparseL23gebsrmvn_general_kernelILj128ELj4E21rocsparse_complex_numIfEEEvi20rocsparse_direction_NS_24const_host_device_scalarIT1_EEPKiS8_PKS5_iiSA_S6_PS5_21rocsparse_index_base_b.has_dyn_sized_stack, 0
	.set _ZN9rocsparseL23gebsrmvn_general_kernelILj128ELj4E21rocsparse_complex_numIfEEEvi20rocsparse_direction_NS_24const_host_device_scalarIT1_EEPKiS8_PKS5_iiSA_S6_PS5_21rocsparse_index_base_b.has_recursion, 0
	.set _ZN9rocsparseL23gebsrmvn_general_kernelILj128ELj4E21rocsparse_complex_numIfEEEvi20rocsparse_direction_NS_24const_host_device_scalarIT1_EEPKiS8_PKS5_iiSA_S6_PS5_21rocsparse_index_base_b.has_indirect_call, 0
	.section	.AMDGPU.csdata,"",@progbits
; Kernel info:
; codeLenInByte = 952
; TotalNumSgprs: 30
; NumVgprs: 17
; ScratchSize: 0
; MemoryBound: 0
; FloatMode: 240
; IeeeMode: 1
; LDSByteSize: 0 bytes/workgroup (compile time only)
; SGPRBlocks: 0
; VGPRBlocks: 2
; NumSGPRsForWavesPerEU: 30
; NumVGPRsForWavesPerEU: 17
; Occupancy: 16
; WaveLimiterHint : 1
; COMPUTE_PGM_RSRC2:SCRATCH_EN: 0
; COMPUTE_PGM_RSRC2:USER_SGPR: 6
; COMPUTE_PGM_RSRC2:TRAP_HANDLER: 0
; COMPUTE_PGM_RSRC2:TGID_X_EN: 1
; COMPUTE_PGM_RSRC2:TGID_Y_EN: 0
; COMPUTE_PGM_RSRC2:TGID_Z_EN: 0
; COMPUTE_PGM_RSRC2:TIDIG_COMP_CNT: 0
	.section	.text._ZN9rocsparseL23gebsrmvn_general_kernelILj256ELj8E21rocsparse_complex_numIfEEEvi20rocsparse_direction_NS_24const_host_device_scalarIT1_EEPKiS8_PKS5_iiSA_S6_PS5_21rocsparse_index_base_b,"axG",@progbits,_ZN9rocsparseL23gebsrmvn_general_kernelILj256ELj8E21rocsparse_complex_numIfEEEvi20rocsparse_direction_NS_24const_host_device_scalarIT1_EEPKiS8_PKS5_iiSA_S6_PS5_21rocsparse_index_base_b,comdat
	.globl	_ZN9rocsparseL23gebsrmvn_general_kernelILj256ELj8E21rocsparse_complex_numIfEEEvi20rocsparse_direction_NS_24const_host_device_scalarIT1_EEPKiS8_PKS5_iiSA_S6_PS5_21rocsparse_index_base_b ; -- Begin function _ZN9rocsparseL23gebsrmvn_general_kernelILj256ELj8E21rocsparse_complex_numIfEEEvi20rocsparse_direction_NS_24const_host_device_scalarIT1_EEPKiS8_PKS5_iiSA_S6_PS5_21rocsparse_index_base_b
	.p2align	8
	.type	_ZN9rocsparseL23gebsrmvn_general_kernelILj256ELj8E21rocsparse_complex_numIfEEEvi20rocsparse_direction_NS_24const_host_device_scalarIT1_EEPKiS8_PKS5_iiSA_S6_PS5_21rocsparse_index_base_b,@function
_ZN9rocsparseL23gebsrmvn_general_kernelILj256ELj8E21rocsparse_complex_numIfEEEvi20rocsparse_direction_NS_24const_host_device_scalarIT1_EEPKiS8_PKS5_iiSA_S6_PS5_21rocsparse_index_base_b: ; @_ZN9rocsparseL23gebsrmvn_general_kernelILj256ELj8E21rocsparse_complex_numIfEEEvi20rocsparse_direction_NS_24const_host_device_scalarIT1_EEPKiS8_PKS5_iiSA_S6_PS5_21rocsparse_index_base_b
; %bb.0:
	s_clause 0x2
	s_load_dwordx2 s[12:13], s[4:5], 0x48
	s_load_dwordx2 s[0:1], s[4:5], 0x8
	;; [unrolled: 1-line block ×3, first 2 shown]
	s_add_u32 s7, s4, 8
	s_addc_u32 s8, s5, 0
	s_add_u32 s9, s4, 56
	s_addc_u32 s10, s5, 0
	s_waitcnt lgkmcnt(0)
	s_bitcmp1_b32 s13, 0
	s_cselect_b32 s0, s7, s0
	s_cselect_b32 s1, s8, s1
	v_mov_b32_e32 v1, s0
	v_mov_b32_e32 v2, s1
	s_cselect_b32 s0, s9, s2
	s_cselect_b32 s1, s10, s3
	v_mov_b32_e32 v3, s0
	v_mov_b32_e32 v4, s1
	flat_load_dwordx2 v[1:2], v[1:2]
	flat_load_dwordx2 v[3:4], v[3:4]
	s_waitcnt vmcnt(1) lgkmcnt(1)
	v_cmp_eq_f32_e32 vcc_lo, 0, v1
	v_cmp_eq_f32_e64 s0, 0, v2
	s_and_b32 s2, vcc_lo, s0
	s_mov_b32 s0, -1
	s_and_saveexec_b32 s1, s2
	s_cbranch_execz .LBB12_2
; %bb.1:
	s_waitcnt vmcnt(0) lgkmcnt(0)
	v_cmp_neq_f32_e32 vcc_lo, 1.0, v3
	v_cmp_neq_f32_e64 s0, 0, v4
	s_or_b32 s0, vcc_lo, s0
	s_orn2_b32 s0, s0, exec_lo
.LBB12_2:
	s_or_b32 exec_lo, exec_lo, s1
	s_and_saveexec_b32 s1, s0
	s_cbranch_execz .LBB12_22
; %bb.3:
	s_load_dwordx2 s[14:15], s[4:5], 0x28
	v_lshrrev_b32_e32 v5, 3, v0
	s_waitcnt lgkmcnt(0)
	v_cmp_gt_i32_e32 vcc_lo, s14, v5
	s_and_b32 exec_lo, exec_lo, vcc_lo
	s_cbranch_execz .LBB12_22
; %bb.4:
	s_clause 0x1
	s_load_dwordx4 s[8:11], s[4:5], 0x10
	s_load_dword s20, s[4:5], 0x4
	s_ashr_i32 s7, s6, 31
	v_mbcnt_lo_u32_b32 v8, -1, 0
	s_lshl_b64 s[0:1], s[6:7], 2
	v_and_b32_e32 v0, 7, v0
	s_mov_b32 s7, 0
	s_mul_i32 s6, s14, s6
	v_xor_b32_e32 v6, 4, v8
	v_xor_b32_e32 v7, 2, v8
	;; [unrolled: 1-line block ×3, first 2 shown]
	s_mul_i32 s23, s15, s14
	v_cmp_gt_i32_e32 vcc_lo, 32, v6
	v_cndmask_b32_e32 v10, v8, v6, vcc_lo
	v_cmp_gt_i32_e32 vcc_lo, 32, v7
	s_waitcnt lgkmcnt(0)
	s_add_u32 s0, s8, s0
	s_addc_u32 s1, s9, s1
	v_lshlrev_b32_e32 v10, 2, v10
	s_load_dwordx2 s[2:3], s[0:1], 0x0
	s_clause 0x2
	s_load_dwordx2 s[8:9], s[4:5], 0x20
	s_load_dwordx2 s[16:17], s[4:5], 0x30
	;; [unrolled: 1-line block ×3, first 2 shown]
	v_cndmask_b32_e32 v11, v8, v7, vcc_lo
	v_cmp_gt_i32_e32 vcc_lo, 32, v9
	v_cmp_gt_i32_e64 s0, s15, v0
	v_cmp_eq_u32_e64 s1, 7, v0
	v_lshlrev_b32_e32 v11, 2, v11
	s_waitcnt lgkmcnt(0)
	s_sub_i32 s13, s2, s12
	s_sub_i32 s18, s3, s12
	v_mad_u64_u32 v[6:7], null, s14, s13, v[5:6]
	v_cndmask_b32_e32 v7, v8, v9, vcc_lo
	s_cmp_lt_i32 s2, s3
	s_waitcnt vmcnt(0)
	v_cmp_eq_f32_e32 vcc_lo, 0, v3
	v_cmp_eq_f32_e64 s2, 0, v4
	s_cselect_b32 s19, -1, 0
	v_lshlrev_b32_e32 v12, 2, v7
	v_mul_lo_u32 v13, s15, v6
	s_cmp_lg_u32 s20, 0
	s_cselect_b32 s20, -1, 0
	s_and_b32 s21, vcc_lo, s2
	s_lshl_b32 s22, s15, 5
	s_branch .LBB12_6
.LBB12_5:                               ;   in Loop: Header=BB12_6 Depth=1
	s_or_b32 exec_lo, exec_lo, s2
	v_add_nc_u32_e32 v5, 32, v5
	v_add_nc_u32_e32 v13, s22, v13
	v_cmp_le_i32_e32 vcc_lo, s14, v5
	s_or_b32 s7, vcc_lo, s7
	s_andn2_b32 exec_lo, exec_lo, s7
	s_cbranch_execz .LBB12_22
.LBB12_6:                               ; =>This Loop Header: Depth=1
                                        ;     Child Loop BB12_10 Depth 2
                                        ;       Child Loop BB12_13 Depth 3
	v_mov_b32_e32 v8, 0
	s_waitcnt lgkmcnt(0)
	v_mov_b32_e32 v9, 0
	s_andn2_b32 vcc_lo, exec_lo, s19
	s_cbranch_vccnz .LBB12_17
; %bb.7:                                ;   in Loop: Header=BB12_6 Depth=1
	v_mov_b32_e32 v8, 0
	v_mov_b32_e32 v14, v13
	;; [unrolled: 1-line block ×3, first 2 shown]
	s_mov_b32 s2, s13
	s_branch .LBB12_10
.LBB12_8:                               ;   in Loop: Header=BB12_10 Depth=2
	s_inst_prefetch 0x2
	s_or_b32 exec_lo, exec_lo, s25
.LBB12_9:                               ;   in Loop: Header=BB12_10 Depth=2
	s_or_b32 exec_lo, exec_lo, s24
	v_add_nc_u32_e32 v14, s23, v14
	s_add_i32 s2, s2, 1
	s_cmp_ge_i32 s2, s18
	s_cbranch_scc1 .LBB12_17
.LBB12_10:                              ;   Parent Loop BB12_6 Depth=1
                                        ; =>  This Loop Header: Depth=2
                                        ;       Child Loop BB12_13 Depth 3
	s_and_saveexec_b32 s24, s0
	s_cbranch_execz .LBB12_9
; %bb.11:                               ;   in Loop: Header=BB12_10 Depth=2
	s_ashr_i32 s3, s2, 31
	v_mov_b32_e32 v15, v0
	s_lshl_b64 s[26:27], s[2:3], 2
	s_mov_b32 s25, 0
	s_add_u32 s26, s10, s26
	s_addc_u32 s27, s11, s27
	s_load_dword s3, s[26:27], 0x0
	s_waitcnt lgkmcnt(0)
	s_sub_i32 s26, s3, s12
	s_mul_i32 s3, s2, s15
	s_mul_i32 s26, s26, s15
	s_inst_prefetch 0x1
	s_branch .LBB12_13
	.p2align	6
.LBB12_12:                              ;   in Loop: Header=BB12_13 Depth=3
	v_add_nc_u32_e32 v16, s26, v15
	v_ashrrev_i32_e32 v7, 31, v6
	v_add_nc_u32_e32 v15, 8, v15
	v_ashrrev_i32_e32 v17, 31, v16
	v_lshlrev_b64 v[6:7], 3, v[6:7]
	v_lshlrev_b64 v[16:17], 3, v[16:17]
	v_add_co_u32 v6, vcc_lo, s8, v6
	v_add_co_ci_u32_e64 v7, null, s9, v7, vcc_lo
	v_add_co_u32 v16, vcc_lo, s16, v16
	v_add_co_ci_u32_e64 v17, null, s17, v17, vcc_lo
	v_cmp_le_i32_e32 vcc_lo, s15, v15
	global_load_dwordx2 v[6:7], v[6:7], off
	global_load_dwordx2 v[16:17], v[16:17], off
	s_or_b32 s25, vcc_lo, s25
	s_waitcnt vmcnt(0)
	v_fmac_f32_e32 v9, v6, v16
	v_fmac_f32_e32 v8, v7, v16
	v_fma_f32 v9, -v7, v17, v9
	v_fmac_f32_e32 v8, v6, v17
	s_andn2_b32 exec_lo, exec_lo, s25
	s_cbranch_execz .LBB12_8
.LBB12_13:                              ;   Parent Loop BB12_6 Depth=1
                                        ;     Parent Loop BB12_10 Depth=2
                                        ; =>    This Inner Loop Header: Depth=3
	s_and_b32 vcc_lo, exec_lo, s20
	s_cbranch_vccz .LBB12_15
; %bb.14:                               ;   in Loop: Header=BB12_13 Depth=3
	v_add_nc_u32_e32 v6, s3, v15
	v_mad_u64_u32 v[6:7], null, v6, s14, v[5:6]
	s_cbranch_execnz .LBB12_12
	s_branch .LBB12_16
.LBB12_15:                              ;   in Loop: Header=BB12_13 Depth=3
                                        ; implicit-def: $vgpr6
.LBB12_16:                              ;   in Loop: Header=BB12_13 Depth=3
	v_add_nc_u32_e32 v6, v14, v15
	s_branch .LBB12_12
.LBB12_17:                              ;   in Loop: Header=BB12_6 Depth=1
	ds_bpermute_b32 v6, v10, v9
	ds_bpermute_b32 v7, v10, v8
	s_waitcnt lgkmcnt(1)
	v_add_f32_e32 v6, v9, v6
	s_waitcnt lgkmcnt(0)
	v_add_f32_e32 v7, v8, v7
	ds_bpermute_b32 v8, v11, v6
	ds_bpermute_b32 v9, v11, v7
	s_waitcnt lgkmcnt(1)
	v_add_f32_e32 v6, v6, v8
	s_waitcnt lgkmcnt(0)
	v_add_f32_e32 v8, v7, v9
	ds_bpermute_b32 v7, v12, v6
	ds_bpermute_b32 v9, v12, v8
	s_and_saveexec_b32 s2, s1
	s_cbranch_execz .LBB12_5
; %bb.18:                               ;   in Loop: Header=BB12_6 Depth=1
	s_waitcnt lgkmcnt(0)
	v_add_f32_e32 v8, v8, v9
	v_add_f32_e32 v9, v6, v7
	v_mul_f32_e64 v6, v8, -v2
	v_mul_f32_e32 v7, v1, v8
	v_add_nc_u32_e32 v8, s6, v5
	v_fmac_f32_e32 v6, v1, v9
	v_fmac_f32_e32 v7, v2, v9
	v_ashrrev_i32_e32 v9, 31, v8
	s_and_saveexec_b32 s3, s21
	s_xor_b32 s3, exec_lo, s3
	s_cbranch_execz .LBB12_20
; %bb.19:                               ;   in Loop: Header=BB12_6 Depth=1
	v_lshlrev_b64 v[8:9], 3, v[8:9]
	v_add_co_u32 v8, vcc_lo, s4, v8
	v_add_co_ci_u32_e64 v9, null, s5, v9, vcc_lo
	global_store_dwordx2 v[8:9], v[6:7], off
                                        ; implicit-def: $vgpr8
                                        ; implicit-def: $vgpr6
.LBB12_20:                              ;   in Loop: Header=BB12_6 Depth=1
	s_andn2_saveexec_b32 s3, s3
	s_cbranch_execz .LBB12_5
; %bb.21:                               ;   in Loop: Header=BB12_6 Depth=1
	v_lshlrev_b64 v[8:9], 3, v[8:9]
	v_add_co_u32 v8, vcc_lo, s4, v8
	v_add_co_ci_u32_e64 v9, null, s5, v9, vcc_lo
	global_load_dwordx2 v[14:15], v[8:9], off
	s_waitcnt vmcnt(0)
	v_fmac_f32_e32 v6, v3, v14
	v_fmac_f32_e32 v7, v4, v14
	v_fma_f32 v6, -v4, v15, v6
	v_fmac_f32_e32 v7, v3, v15
	global_store_dwordx2 v[8:9], v[6:7], off
	s_branch .LBB12_5
.LBB12_22:
	s_endpgm
	.section	.rodata,"a",@progbits
	.p2align	6, 0x0
	.amdhsa_kernel _ZN9rocsparseL23gebsrmvn_general_kernelILj256ELj8E21rocsparse_complex_numIfEEEvi20rocsparse_direction_NS_24const_host_device_scalarIT1_EEPKiS8_PKS5_iiSA_S6_PS5_21rocsparse_index_base_b
		.amdhsa_group_segment_fixed_size 0
		.amdhsa_private_segment_fixed_size 0
		.amdhsa_kernarg_size 80
		.amdhsa_user_sgpr_count 6
		.amdhsa_user_sgpr_private_segment_buffer 1
		.amdhsa_user_sgpr_dispatch_ptr 0
		.amdhsa_user_sgpr_queue_ptr 0
		.amdhsa_user_sgpr_kernarg_segment_ptr 1
		.amdhsa_user_sgpr_dispatch_id 0
		.amdhsa_user_sgpr_flat_scratch_init 0
		.amdhsa_user_sgpr_private_segment_size 0
		.amdhsa_wavefront_size32 1
		.amdhsa_uses_dynamic_stack 0
		.amdhsa_system_sgpr_private_segment_wavefront_offset 0
		.amdhsa_system_sgpr_workgroup_id_x 1
		.amdhsa_system_sgpr_workgroup_id_y 0
		.amdhsa_system_sgpr_workgroup_id_z 0
		.amdhsa_system_sgpr_workgroup_info 0
		.amdhsa_system_vgpr_workitem_id 0
		.amdhsa_next_free_vgpr 18
		.amdhsa_next_free_sgpr 28
		.amdhsa_reserve_vcc 1
		.amdhsa_reserve_flat_scratch 0
		.amdhsa_float_round_mode_32 0
		.amdhsa_float_round_mode_16_64 0
		.amdhsa_float_denorm_mode_32 3
		.amdhsa_float_denorm_mode_16_64 3
		.amdhsa_dx10_clamp 1
		.amdhsa_ieee_mode 1
		.amdhsa_fp16_overflow 0
		.amdhsa_workgroup_processor_mode 1
		.amdhsa_memory_ordered 1
		.amdhsa_forward_progress 1
		.amdhsa_shared_vgpr_count 0
		.amdhsa_exception_fp_ieee_invalid_op 0
		.amdhsa_exception_fp_denorm_src 0
		.amdhsa_exception_fp_ieee_div_zero 0
		.amdhsa_exception_fp_ieee_overflow 0
		.amdhsa_exception_fp_ieee_underflow 0
		.amdhsa_exception_fp_ieee_inexact 0
		.amdhsa_exception_int_div_zero 0
	.end_amdhsa_kernel
	.section	.text._ZN9rocsparseL23gebsrmvn_general_kernelILj256ELj8E21rocsparse_complex_numIfEEEvi20rocsparse_direction_NS_24const_host_device_scalarIT1_EEPKiS8_PKS5_iiSA_S6_PS5_21rocsparse_index_base_b,"axG",@progbits,_ZN9rocsparseL23gebsrmvn_general_kernelILj256ELj8E21rocsparse_complex_numIfEEEvi20rocsparse_direction_NS_24const_host_device_scalarIT1_EEPKiS8_PKS5_iiSA_S6_PS5_21rocsparse_index_base_b,comdat
.Lfunc_end12:
	.size	_ZN9rocsparseL23gebsrmvn_general_kernelILj256ELj8E21rocsparse_complex_numIfEEEvi20rocsparse_direction_NS_24const_host_device_scalarIT1_EEPKiS8_PKS5_iiSA_S6_PS5_21rocsparse_index_base_b, .Lfunc_end12-_ZN9rocsparseL23gebsrmvn_general_kernelILj256ELj8E21rocsparse_complex_numIfEEEvi20rocsparse_direction_NS_24const_host_device_scalarIT1_EEPKiS8_PKS5_iiSA_S6_PS5_21rocsparse_index_base_b
                                        ; -- End function
	.set _ZN9rocsparseL23gebsrmvn_general_kernelILj256ELj8E21rocsparse_complex_numIfEEEvi20rocsparse_direction_NS_24const_host_device_scalarIT1_EEPKiS8_PKS5_iiSA_S6_PS5_21rocsparse_index_base_b.num_vgpr, 18
	.set _ZN9rocsparseL23gebsrmvn_general_kernelILj256ELj8E21rocsparse_complex_numIfEEEvi20rocsparse_direction_NS_24const_host_device_scalarIT1_EEPKiS8_PKS5_iiSA_S6_PS5_21rocsparse_index_base_b.num_agpr, 0
	.set _ZN9rocsparseL23gebsrmvn_general_kernelILj256ELj8E21rocsparse_complex_numIfEEEvi20rocsparse_direction_NS_24const_host_device_scalarIT1_EEPKiS8_PKS5_iiSA_S6_PS5_21rocsparse_index_base_b.numbered_sgpr, 28
	.set _ZN9rocsparseL23gebsrmvn_general_kernelILj256ELj8E21rocsparse_complex_numIfEEEvi20rocsparse_direction_NS_24const_host_device_scalarIT1_EEPKiS8_PKS5_iiSA_S6_PS5_21rocsparse_index_base_b.num_named_barrier, 0
	.set _ZN9rocsparseL23gebsrmvn_general_kernelILj256ELj8E21rocsparse_complex_numIfEEEvi20rocsparse_direction_NS_24const_host_device_scalarIT1_EEPKiS8_PKS5_iiSA_S6_PS5_21rocsparse_index_base_b.private_seg_size, 0
	.set _ZN9rocsparseL23gebsrmvn_general_kernelILj256ELj8E21rocsparse_complex_numIfEEEvi20rocsparse_direction_NS_24const_host_device_scalarIT1_EEPKiS8_PKS5_iiSA_S6_PS5_21rocsparse_index_base_b.uses_vcc, 1
	.set _ZN9rocsparseL23gebsrmvn_general_kernelILj256ELj8E21rocsparse_complex_numIfEEEvi20rocsparse_direction_NS_24const_host_device_scalarIT1_EEPKiS8_PKS5_iiSA_S6_PS5_21rocsparse_index_base_b.uses_flat_scratch, 0
	.set _ZN9rocsparseL23gebsrmvn_general_kernelILj256ELj8E21rocsparse_complex_numIfEEEvi20rocsparse_direction_NS_24const_host_device_scalarIT1_EEPKiS8_PKS5_iiSA_S6_PS5_21rocsparse_index_base_b.has_dyn_sized_stack, 0
	.set _ZN9rocsparseL23gebsrmvn_general_kernelILj256ELj8E21rocsparse_complex_numIfEEEvi20rocsparse_direction_NS_24const_host_device_scalarIT1_EEPKiS8_PKS5_iiSA_S6_PS5_21rocsparse_index_base_b.has_recursion, 0
	.set _ZN9rocsparseL23gebsrmvn_general_kernelILj256ELj8E21rocsparse_complex_numIfEEEvi20rocsparse_direction_NS_24const_host_device_scalarIT1_EEPKiS8_PKS5_iiSA_S6_PS5_21rocsparse_index_base_b.has_indirect_call, 0
	.section	.AMDGPU.csdata,"",@progbits
; Kernel info:
; codeLenInByte = 1048
; TotalNumSgprs: 30
; NumVgprs: 18
; ScratchSize: 0
; MemoryBound: 0
; FloatMode: 240
; IeeeMode: 1
; LDSByteSize: 0 bytes/workgroup (compile time only)
; SGPRBlocks: 0
; VGPRBlocks: 2
; NumSGPRsForWavesPerEU: 30
; NumVGPRsForWavesPerEU: 18
; Occupancy: 16
; WaveLimiterHint : 1
; COMPUTE_PGM_RSRC2:SCRATCH_EN: 0
; COMPUTE_PGM_RSRC2:USER_SGPR: 6
; COMPUTE_PGM_RSRC2:TRAP_HANDLER: 0
; COMPUTE_PGM_RSRC2:TGID_X_EN: 1
; COMPUTE_PGM_RSRC2:TGID_Y_EN: 0
; COMPUTE_PGM_RSRC2:TGID_Z_EN: 0
; COMPUTE_PGM_RSRC2:TIDIG_COMP_CNT: 0
	.section	.text._ZN9rocsparseL23gebsrmvn_general_kernelILj512ELj16E21rocsparse_complex_numIfEEEvi20rocsparse_direction_NS_24const_host_device_scalarIT1_EEPKiS8_PKS5_iiSA_S6_PS5_21rocsparse_index_base_b,"axG",@progbits,_ZN9rocsparseL23gebsrmvn_general_kernelILj512ELj16E21rocsparse_complex_numIfEEEvi20rocsparse_direction_NS_24const_host_device_scalarIT1_EEPKiS8_PKS5_iiSA_S6_PS5_21rocsparse_index_base_b,comdat
	.globl	_ZN9rocsparseL23gebsrmvn_general_kernelILj512ELj16E21rocsparse_complex_numIfEEEvi20rocsparse_direction_NS_24const_host_device_scalarIT1_EEPKiS8_PKS5_iiSA_S6_PS5_21rocsparse_index_base_b ; -- Begin function _ZN9rocsparseL23gebsrmvn_general_kernelILj512ELj16E21rocsparse_complex_numIfEEEvi20rocsparse_direction_NS_24const_host_device_scalarIT1_EEPKiS8_PKS5_iiSA_S6_PS5_21rocsparse_index_base_b
	.p2align	8
	.type	_ZN9rocsparseL23gebsrmvn_general_kernelILj512ELj16E21rocsparse_complex_numIfEEEvi20rocsparse_direction_NS_24const_host_device_scalarIT1_EEPKiS8_PKS5_iiSA_S6_PS5_21rocsparse_index_base_b,@function
_ZN9rocsparseL23gebsrmvn_general_kernelILj512ELj16E21rocsparse_complex_numIfEEEvi20rocsparse_direction_NS_24const_host_device_scalarIT1_EEPKiS8_PKS5_iiSA_S6_PS5_21rocsparse_index_base_b: ; @_ZN9rocsparseL23gebsrmvn_general_kernelILj512ELj16E21rocsparse_complex_numIfEEEvi20rocsparse_direction_NS_24const_host_device_scalarIT1_EEPKiS8_PKS5_iiSA_S6_PS5_21rocsparse_index_base_b
; %bb.0:
	s_clause 0x2
	s_load_dwordx2 s[12:13], s[4:5], 0x48
	s_load_dwordx2 s[0:1], s[4:5], 0x8
	;; [unrolled: 1-line block ×3, first 2 shown]
	s_add_u32 s7, s4, 8
	s_addc_u32 s8, s5, 0
	s_add_u32 s9, s4, 56
	s_addc_u32 s10, s5, 0
	s_waitcnt lgkmcnt(0)
	s_bitcmp1_b32 s13, 0
	s_cselect_b32 s0, s7, s0
	s_cselect_b32 s1, s8, s1
	v_mov_b32_e32 v1, s0
	v_mov_b32_e32 v2, s1
	s_cselect_b32 s0, s9, s2
	s_cselect_b32 s1, s10, s3
	v_mov_b32_e32 v3, s0
	v_mov_b32_e32 v4, s1
	flat_load_dwordx2 v[1:2], v[1:2]
	flat_load_dwordx2 v[3:4], v[3:4]
	s_waitcnt vmcnt(1) lgkmcnt(1)
	v_cmp_eq_f32_e32 vcc_lo, 0, v1
	v_cmp_eq_f32_e64 s0, 0, v2
	s_and_b32 s2, vcc_lo, s0
	s_mov_b32 s0, -1
	s_and_saveexec_b32 s1, s2
	s_cbranch_execz .LBB13_2
; %bb.1:
	s_waitcnt vmcnt(0) lgkmcnt(0)
	v_cmp_neq_f32_e32 vcc_lo, 1.0, v3
	v_cmp_neq_f32_e64 s0, 0, v4
	s_or_b32 s0, vcc_lo, s0
	s_orn2_b32 s0, s0, exec_lo
.LBB13_2:
	s_or_b32 exec_lo, exec_lo, s1
	s_and_saveexec_b32 s1, s0
	s_cbranch_execz .LBB13_22
; %bb.3:
	s_load_dwordx2 s[14:15], s[4:5], 0x28
	v_lshrrev_b32_e32 v5, 4, v0
	s_waitcnt lgkmcnt(0)
	v_cmp_gt_i32_e32 vcc_lo, s14, v5
	s_and_b32 exec_lo, exec_lo, vcc_lo
	s_cbranch_execz .LBB13_22
; %bb.4:
	s_clause 0x1
	s_load_dwordx4 s[8:11], s[4:5], 0x10
	s_load_dword s20, s[4:5], 0x4
	v_mbcnt_lo_u32_b32 v6, -1, 0
	s_ashr_i32 s7, s6, 31
	v_and_b32_e32 v0, 15, v0
	s_lshl_b64 s[0:1], s[6:7], 2
	s_mov_b32 s7, 0
	v_xor_b32_e32 v7, 8, v6
	v_xor_b32_e32 v8, 4, v6
	;; [unrolled: 1-line block ×4, first 2 shown]
	s_mul_i32 s6, s14, s6
	v_cmp_gt_i32_e32 vcc_lo, 32, v7
	s_mul_i32 s23, s15, s14
	v_cndmask_b32_e32 v11, v6, v7, vcc_lo
	v_cmp_gt_i32_e32 vcc_lo, 32, v8
	s_waitcnt lgkmcnt(0)
	s_add_u32 s0, s8, s0
	s_addc_u32 s1, s9, s1
	v_cndmask_b32_e32 v8, v6, v8, vcc_lo
	s_load_dwordx2 s[2:3], s[0:1], 0x0
	v_cmp_gt_i32_e32 vcc_lo, 32, v9
	s_clause 0x2
	s_load_dwordx2 s[8:9], s[4:5], 0x20
	s_load_dwordx2 s[16:17], s[4:5], 0x30
	;; [unrolled: 1-line block ×3, first 2 shown]
	v_cmp_gt_i32_e64 s0, s15, v0
	v_cmp_eq_u32_e64 s1, 15, v0
	v_cndmask_b32_e32 v9, v6, v9, vcc_lo
	v_cmp_gt_i32_e32 vcc_lo, 32, v10
	v_lshlrev_b32_e32 v12, 2, v9
	v_cndmask_b32_e32 v13, v6, v10, vcc_lo
	s_waitcnt vmcnt(0)
	v_cmp_eq_f32_e32 vcc_lo, 0, v3
	v_lshlrev_b32_e32 v10, 2, v11
	v_lshlrev_b32_e32 v11, 2, v8
	;; [unrolled: 1-line block ×3, first 2 shown]
	s_waitcnt lgkmcnt(0)
	s_sub_i32 s13, s2, s12
	s_sub_i32 s18, s3, s12
	v_mad_u64_u32 v[6:7], null, s14, s13, v[5:6]
	s_cmp_lt_i32 s2, s3
	v_cmp_eq_f32_e64 s2, 0, v4
	s_cselect_b32 s19, -1, 0
	s_cmp_lg_u32 s20, 0
	s_cselect_b32 s20, -1, 0
	v_mul_lo_u32 v14, s15, v6
	s_and_b32 s21, vcc_lo, s2
	s_lshl_b32 s22, s15, 5
	s_branch .LBB13_6
.LBB13_5:                               ;   in Loop: Header=BB13_6 Depth=1
	s_or_b32 exec_lo, exec_lo, s2
	v_add_nc_u32_e32 v5, 32, v5
	v_add_nc_u32_e32 v14, s22, v14
	v_cmp_le_i32_e32 vcc_lo, s14, v5
	s_or_b32 s7, vcc_lo, s7
	s_andn2_b32 exec_lo, exec_lo, s7
	s_cbranch_execz .LBB13_22
.LBB13_6:                               ; =>This Loop Header: Depth=1
                                        ;     Child Loop BB13_10 Depth 2
                                        ;       Child Loop BB13_13 Depth 3
	v_mov_b32_e32 v8, 0
	s_waitcnt lgkmcnt(0)
	v_mov_b32_e32 v9, 0
	s_andn2_b32 vcc_lo, exec_lo, s19
	s_cbranch_vccnz .LBB13_17
; %bb.7:                                ;   in Loop: Header=BB13_6 Depth=1
	v_mov_b32_e32 v8, 0
	v_mov_b32_e32 v15, v14
	;; [unrolled: 1-line block ×3, first 2 shown]
	s_mov_b32 s2, s13
	s_branch .LBB13_10
.LBB13_8:                               ;   in Loop: Header=BB13_10 Depth=2
	s_inst_prefetch 0x2
	s_or_b32 exec_lo, exec_lo, s25
.LBB13_9:                               ;   in Loop: Header=BB13_10 Depth=2
	s_or_b32 exec_lo, exec_lo, s24
	v_add_nc_u32_e32 v15, s23, v15
	s_add_i32 s2, s2, 1
	s_cmp_ge_i32 s2, s18
	s_cbranch_scc1 .LBB13_17
.LBB13_10:                              ;   Parent Loop BB13_6 Depth=1
                                        ; =>  This Loop Header: Depth=2
                                        ;       Child Loop BB13_13 Depth 3
	s_and_saveexec_b32 s24, s0
	s_cbranch_execz .LBB13_9
; %bb.11:                               ;   in Loop: Header=BB13_10 Depth=2
	s_ashr_i32 s3, s2, 31
	v_mov_b32_e32 v16, v0
	s_lshl_b64 s[26:27], s[2:3], 2
	s_mov_b32 s25, 0
	s_add_u32 s26, s10, s26
	s_addc_u32 s27, s11, s27
	s_load_dword s3, s[26:27], 0x0
	s_waitcnt lgkmcnt(0)
	s_sub_i32 s26, s3, s12
	s_mul_i32 s3, s2, s15
	s_mul_i32 s26, s26, s15
	s_inst_prefetch 0x1
	s_branch .LBB13_13
	.p2align	6
.LBB13_12:                              ;   in Loop: Header=BB13_13 Depth=3
	v_add_nc_u32_e32 v17, s26, v16
	v_ashrrev_i32_e32 v7, 31, v6
	v_add_nc_u32_e32 v16, 16, v16
	v_ashrrev_i32_e32 v18, 31, v17
	v_lshlrev_b64 v[6:7], 3, v[6:7]
	v_lshlrev_b64 v[17:18], 3, v[17:18]
	v_add_co_u32 v6, vcc_lo, s8, v6
	v_add_co_ci_u32_e64 v7, null, s9, v7, vcc_lo
	v_add_co_u32 v17, vcc_lo, s16, v17
	v_add_co_ci_u32_e64 v18, null, s17, v18, vcc_lo
	v_cmp_le_i32_e32 vcc_lo, s15, v16
	global_load_dwordx2 v[6:7], v[6:7], off
	global_load_dwordx2 v[17:18], v[17:18], off
	s_or_b32 s25, vcc_lo, s25
	s_waitcnt vmcnt(0)
	v_fmac_f32_e32 v9, v6, v17
	v_fmac_f32_e32 v8, v7, v17
	v_fma_f32 v9, -v7, v18, v9
	v_fmac_f32_e32 v8, v6, v18
	s_andn2_b32 exec_lo, exec_lo, s25
	s_cbranch_execz .LBB13_8
.LBB13_13:                              ;   Parent Loop BB13_6 Depth=1
                                        ;     Parent Loop BB13_10 Depth=2
                                        ; =>    This Inner Loop Header: Depth=3
	s_and_b32 vcc_lo, exec_lo, s20
	s_cbranch_vccz .LBB13_15
; %bb.14:                               ;   in Loop: Header=BB13_13 Depth=3
	v_add_nc_u32_e32 v6, s3, v16
	v_mad_u64_u32 v[6:7], null, v6, s14, v[5:6]
	s_cbranch_execnz .LBB13_12
	s_branch .LBB13_16
.LBB13_15:                              ;   in Loop: Header=BB13_13 Depth=3
                                        ; implicit-def: $vgpr6
.LBB13_16:                              ;   in Loop: Header=BB13_13 Depth=3
	v_add_nc_u32_e32 v6, v15, v16
	s_branch .LBB13_12
.LBB13_17:                              ;   in Loop: Header=BB13_6 Depth=1
	ds_bpermute_b32 v6, v10, v9
	ds_bpermute_b32 v7, v10, v8
	s_waitcnt lgkmcnt(1)
	v_add_f32_e32 v6, v9, v6
	s_waitcnt lgkmcnt(0)
	v_add_f32_e32 v7, v8, v7
	ds_bpermute_b32 v8, v11, v6
	ds_bpermute_b32 v9, v11, v7
	s_waitcnt lgkmcnt(1)
	v_add_f32_e32 v6, v6, v8
	s_waitcnt lgkmcnt(0)
	v_add_f32_e32 v7, v7, v9
	;; [unrolled: 6-line block ×3, first 2 shown]
	ds_bpermute_b32 v7, v13, v6
	ds_bpermute_b32 v9, v13, v8
	s_and_saveexec_b32 s2, s1
	s_cbranch_execz .LBB13_5
; %bb.18:                               ;   in Loop: Header=BB13_6 Depth=1
	s_waitcnt lgkmcnt(0)
	v_add_f32_e32 v8, v8, v9
	v_add_f32_e32 v9, v6, v7
	v_mul_f32_e64 v6, v8, -v2
	v_mul_f32_e32 v7, v1, v8
	v_add_nc_u32_e32 v8, s6, v5
	v_fmac_f32_e32 v6, v1, v9
	v_fmac_f32_e32 v7, v2, v9
	v_ashrrev_i32_e32 v9, 31, v8
	s_and_saveexec_b32 s3, s21
	s_xor_b32 s3, exec_lo, s3
	s_cbranch_execz .LBB13_20
; %bb.19:                               ;   in Loop: Header=BB13_6 Depth=1
	v_lshlrev_b64 v[8:9], 3, v[8:9]
	v_add_co_u32 v8, vcc_lo, s4, v8
	v_add_co_ci_u32_e64 v9, null, s5, v9, vcc_lo
	global_store_dwordx2 v[8:9], v[6:7], off
                                        ; implicit-def: $vgpr8
                                        ; implicit-def: $vgpr6
.LBB13_20:                              ;   in Loop: Header=BB13_6 Depth=1
	s_andn2_saveexec_b32 s3, s3
	s_cbranch_execz .LBB13_5
; %bb.21:                               ;   in Loop: Header=BB13_6 Depth=1
	v_lshlrev_b64 v[8:9], 3, v[8:9]
	v_add_co_u32 v8, vcc_lo, s4, v8
	v_add_co_ci_u32_e64 v9, null, s5, v9, vcc_lo
	global_load_dwordx2 v[15:16], v[8:9], off
	s_waitcnt vmcnt(0)
	v_fmac_f32_e32 v6, v3, v15
	v_fmac_f32_e32 v7, v4, v15
	v_fma_f32 v6, -v4, v16, v6
	v_fmac_f32_e32 v7, v3, v16
	global_store_dwordx2 v[8:9], v[6:7], off
	s_branch .LBB13_5
.LBB13_22:
	s_endpgm
	.section	.rodata,"a",@progbits
	.p2align	6, 0x0
	.amdhsa_kernel _ZN9rocsparseL23gebsrmvn_general_kernelILj512ELj16E21rocsparse_complex_numIfEEEvi20rocsparse_direction_NS_24const_host_device_scalarIT1_EEPKiS8_PKS5_iiSA_S6_PS5_21rocsparse_index_base_b
		.amdhsa_group_segment_fixed_size 0
		.amdhsa_private_segment_fixed_size 0
		.amdhsa_kernarg_size 80
		.amdhsa_user_sgpr_count 6
		.amdhsa_user_sgpr_private_segment_buffer 1
		.amdhsa_user_sgpr_dispatch_ptr 0
		.amdhsa_user_sgpr_queue_ptr 0
		.amdhsa_user_sgpr_kernarg_segment_ptr 1
		.amdhsa_user_sgpr_dispatch_id 0
		.amdhsa_user_sgpr_flat_scratch_init 0
		.amdhsa_user_sgpr_private_segment_size 0
		.amdhsa_wavefront_size32 1
		.amdhsa_uses_dynamic_stack 0
		.amdhsa_system_sgpr_private_segment_wavefront_offset 0
		.amdhsa_system_sgpr_workgroup_id_x 1
		.amdhsa_system_sgpr_workgroup_id_y 0
		.amdhsa_system_sgpr_workgroup_id_z 0
		.amdhsa_system_sgpr_workgroup_info 0
		.amdhsa_system_vgpr_workitem_id 0
		.amdhsa_next_free_vgpr 19
		.amdhsa_next_free_sgpr 28
		.amdhsa_reserve_vcc 1
		.amdhsa_reserve_flat_scratch 0
		.amdhsa_float_round_mode_32 0
		.amdhsa_float_round_mode_16_64 0
		.amdhsa_float_denorm_mode_32 3
		.amdhsa_float_denorm_mode_16_64 3
		.amdhsa_dx10_clamp 1
		.amdhsa_ieee_mode 1
		.amdhsa_fp16_overflow 0
		.amdhsa_workgroup_processor_mode 1
		.amdhsa_memory_ordered 1
		.amdhsa_forward_progress 1
		.amdhsa_shared_vgpr_count 0
		.amdhsa_exception_fp_ieee_invalid_op 0
		.amdhsa_exception_fp_denorm_src 0
		.amdhsa_exception_fp_ieee_div_zero 0
		.amdhsa_exception_fp_ieee_overflow 0
		.amdhsa_exception_fp_ieee_underflow 0
		.amdhsa_exception_fp_ieee_inexact 0
		.amdhsa_exception_int_div_zero 0
	.end_amdhsa_kernel
	.section	.text._ZN9rocsparseL23gebsrmvn_general_kernelILj512ELj16E21rocsparse_complex_numIfEEEvi20rocsparse_direction_NS_24const_host_device_scalarIT1_EEPKiS8_PKS5_iiSA_S6_PS5_21rocsparse_index_base_b,"axG",@progbits,_ZN9rocsparseL23gebsrmvn_general_kernelILj512ELj16E21rocsparse_complex_numIfEEEvi20rocsparse_direction_NS_24const_host_device_scalarIT1_EEPKiS8_PKS5_iiSA_S6_PS5_21rocsparse_index_base_b,comdat
.Lfunc_end13:
	.size	_ZN9rocsparseL23gebsrmvn_general_kernelILj512ELj16E21rocsparse_complex_numIfEEEvi20rocsparse_direction_NS_24const_host_device_scalarIT1_EEPKiS8_PKS5_iiSA_S6_PS5_21rocsparse_index_base_b, .Lfunc_end13-_ZN9rocsparseL23gebsrmvn_general_kernelILj512ELj16E21rocsparse_complex_numIfEEEvi20rocsparse_direction_NS_24const_host_device_scalarIT1_EEPKiS8_PKS5_iiSA_S6_PS5_21rocsparse_index_base_b
                                        ; -- End function
	.set _ZN9rocsparseL23gebsrmvn_general_kernelILj512ELj16E21rocsparse_complex_numIfEEEvi20rocsparse_direction_NS_24const_host_device_scalarIT1_EEPKiS8_PKS5_iiSA_S6_PS5_21rocsparse_index_base_b.num_vgpr, 19
	.set _ZN9rocsparseL23gebsrmvn_general_kernelILj512ELj16E21rocsparse_complex_numIfEEEvi20rocsparse_direction_NS_24const_host_device_scalarIT1_EEPKiS8_PKS5_iiSA_S6_PS5_21rocsparse_index_base_b.num_agpr, 0
	.set _ZN9rocsparseL23gebsrmvn_general_kernelILj512ELj16E21rocsparse_complex_numIfEEEvi20rocsparse_direction_NS_24const_host_device_scalarIT1_EEPKiS8_PKS5_iiSA_S6_PS5_21rocsparse_index_base_b.numbered_sgpr, 28
	.set _ZN9rocsparseL23gebsrmvn_general_kernelILj512ELj16E21rocsparse_complex_numIfEEEvi20rocsparse_direction_NS_24const_host_device_scalarIT1_EEPKiS8_PKS5_iiSA_S6_PS5_21rocsparse_index_base_b.num_named_barrier, 0
	.set _ZN9rocsparseL23gebsrmvn_general_kernelILj512ELj16E21rocsparse_complex_numIfEEEvi20rocsparse_direction_NS_24const_host_device_scalarIT1_EEPKiS8_PKS5_iiSA_S6_PS5_21rocsparse_index_base_b.private_seg_size, 0
	.set _ZN9rocsparseL23gebsrmvn_general_kernelILj512ELj16E21rocsparse_complex_numIfEEEvi20rocsparse_direction_NS_24const_host_device_scalarIT1_EEPKiS8_PKS5_iiSA_S6_PS5_21rocsparse_index_base_b.uses_vcc, 1
	.set _ZN9rocsparseL23gebsrmvn_general_kernelILj512ELj16E21rocsparse_complex_numIfEEEvi20rocsparse_direction_NS_24const_host_device_scalarIT1_EEPKiS8_PKS5_iiSA_S6_PS5_21rocsparse_index_base_b.uses_flat_scratch, 0
	.set _ZN9rocsparseL23gebsrmvn_general_kernelILj512ELj16E21rocsparse_complex_numIfEEEvi20rocsparse_direction_NS_24const_host_device_scalarIT1_EEPKiS8_PKS5_iiSA_S6_PS5_21rocsparse_index_base_b.has_dyn_sized_stack, 0
	.set _ZN9rocsparseL23gebsrmvn_general_kernelILj512ELj16E21rocsparse_complex_numIfEEEvi20rocsparse_direction_NS_24const_host_device_scalarIT1_EEPKiS8_PKS5_iiSA_S6_PS5_21rocsparse_index_base_b.has_recursion, 0
	.set _ZN9rocsparseL23gebsrmvn_general_kernelILj512ELj16E21rocsparse_complex_numIfEEEvi20rocsparse_direction_NS_24const_host_device_scalarIT1_EEPKiS8_PKS5_iiSA_S6_PS5_21rocsparse_index_base_b.has_indirect_call, 0
	.section	.AMDGPU.csdata,"",@progbits
; Kernel info:
; codeLenInByte = 1080
; TotalNumSgprs: 30
; NumVgprs: 19
; ScratchSize: 0
; MemoryBound: 0
; FloatMode: 240
; IeeeMode: 1
; LDSByteSize: 0 bytes/workgroup (compile time only)
; SGPRBlocks: 0
; VGPRBlocks: 2
; NumSGPRsForWavesPerEU: 30
; NumVGPRsForWavesPerEU: 19
; Occupancy: 16
; WaveLimiterHint : 1
; COMPUTE_PGM_RSRC2:SCRATCH_EN: 0
; COMPUTE_PGM_RSRC2:USER_SGPR: 6
; COMPUTE_PGM_RSRC2:TRAP_HANDLER: 0
; COMPUTE_PGM_RSRC2:TGID_X_EN: 1
; COMPUTE_PGM_RSRC2:TGID_Y_EN: 0
; COMPUTE_PGM_RSRC2:TGID_Z_EN: 0
; COMPUTE_PGM_RSRC2:TIDIG_COMP_CNT: 0
	.section	.text._ZN9rocsparseL23gebsrmvn_general_kernelILj1024ELj32E21rocsparse_complex_numIfEEEvi20rocsparse_direction_NS_24const_host_device_scalarIT1_EEPKiS8_PKS5_iiSA_S6_PS5_21rocsparse_index_base_b,"axG",@progbits,_ZN9rocsparseL23gebsrmvn_general_kernelILj1024ELj32E21rocsparse_complex_numIfEEEvi20rocsparse_direction_NS_24const_host_device_scalarIT1_EEPKiS8_PKS5_iiSA_S6_PS5_21rocsparse_index_base_b,comdat
	.globl	_ZN9rocsparseL23gebsrmvn_general_kernelILj1024ELj32E21rocsparse_complex_numIfEEEvi20rocsparse_direction_NS_24const_host_device_scalarIT1_EEPKiS8_PKS5_iiSA_S6_PS5_21rocsparse_index_base_b ; -- Begin function _ZN9rocsparseL23gebsrmvn_general_kernelILj1024ELj32E21rocsparse_complex_numIfEEEvi20rocsparse_direction_NS_24const_host_device_scalarIT1_EEPKiS8_PKS5_iiSA_S6_PS5_21rocsparse_index_base_b
	.p2align	8
	.type	_ZN9rocsparseL23gebsrmvn_general_kernelILj1024ELj32E21rocsparse_complex_numIfEEEvi20rocsparse_direction_NS_24const_host_device_scalarIT1_EEPKiS8_PKS5_iiSA_S6_PS5_21rocsparse_index_base_b,@function
_ZN9rocsparseL23gebsrmvn_general_kernelILj1024ELj32E21rocsparse_complex_numIfEEEvi20rocsparse_direction_NS_24const_host_device_scalarIT1_EEPKiS8_PKS5_iiSA_S6_PS5_21rocsparse_index_base_b: ; @_ZN9rocsparseL23gebsrmvn_general_kernelILj1024ELj32E21rocsparse_complex_numIfEEEvi20rocsparse_direction_NS_24const_host_device_scalarIT1_EEPKiS8_PKS5_iiSA_S6_PS5_21rocsparse_index_base_b
; %bb.0:
	s_clause 0x2
	s_load_dwordx2 s[12:13], s[4:5], 0x48
	s_load_dwordx2 s[0:1], s[4:5], 0x8
	s_load_dwordx2 s[2:3], s[4:5], 0x38
	s_add_u32 s7, s4, 8
	s_addc_u32 s8, s5, 0
	s_add_u32 s9, s4, 56
	s_addc_u32 s10, s5, 0
	s_waitcnt lgkmcnt(0)
	s_bitcmp1_b32 s13, 0
	s_cselect_b32 s0, s7, s0
	s_cselect_b32 s1, s8, s1
	v_mov_b32_e32 v1, s0
	v_mov_b32_e32 v2, s1
	s_cselect_b32 s0, s9, s2
	s_cselect_b32 s1, s10, s3
	v_mov_b32_e32 v3, s0
	v_mov_b32_e32 v4, s1
	flat_load_dwordx2 v[1:2], v[1:2]
	flat_load_dwordx2 v[3:4], v[3:4]
	s_waitcnt vmcnt(1) lgkmcnt(1)
	v_cmp_eq_f32_e32 vcc_lo, 0, v1
	v_cmp_eq_f32_e64 s0, 0, v2
	s_and_b32 s2, vcc_lo, s0
	s_mov_b32 s0, -1
	s_and_saveexec_b32 s1, s2
	s_cbranch_execz .LBB14_2
; %bb.1:
	s_waitcnt vmcnt(0) lgkmcnt(0)
	v_cmp_neq_f32_e32 vcc_lo, 1.0, v3
	v_cmp_neq_f32_e64 s0, 0, v4
	s_or_b32 s0, vcc_lo, s0
	s_orn2_b32 s0, s0, exec_lo
.LBB14_2:
	s_or_b32 exec_lo, exec_lo, s1
	s_and_saveexec_b32 s1, s0
	s_cbranch_execz .LBB14_22
; %bb.3:
	s_load_dwordx2 s[14:15], s[4:5], 0x28
	v_lshrrev_b32_e32 v5, 5, v0
	s_waitcnt lgkmcnt(0)
	v_cmp_gt_i32_e32 vcc_lo, s14, v5
	s_and_b32 exec_lo, exec_lo, vcc_lo
	s_cbranch_execz .LBB14_22
; %bb.4:
	s_clause 0x1
	s_load_dwordx4 s[8:11], s[4:5], 0x10
	s_load_dword s20, s[4:5], 0x4
	v_mbcnt_lo_u32_b32 v6, -1, 0
	s_ashr_i32 s7, s6, 31
	v_and_b32_e32 v0, 31, v0
	s_lshl_b64 s[0:1], s[6:7], 2
	s_mov_b32 s7, 0
	v_xor_b32_e32 v7, 16, v6
	v_xor_b32_e32 v8, 8, v6
	;; [unrolled: 1-line block ×5, first 2 shown]
	v_cmp_gt_i32_e32 vcc_lo, 32, v7
	s_mul_i32 s6, s14, s6
	s_mul_i32 s23, s15, s14
	v_cndmask_b32_e32 v7, v6, v7, vcc_lo
	v_cmp_gt_i32_e32 vcc_lo, 32, v8
	s_waitcnt lgkmcnt(0)
	s_add_u32 s0, s8, s0
	s_addc_u32 s1, s9, s1
	s_load_dwordx2 s[2:3], s[0:1], 0x0
	s_clause 0x2
	s_load_dwordx2 s[8:9], s[4:5], 0x20
	s_load_dwordx2 s[16:17], s[4:5], 0x30
	;; [unrolled: 1-line block ×3, first 2 shown]
	v_cndmask_b32_e32 v8, v6, v8, vcc_lo
	v_cmp_gt_i32_e32 vcc_lo, 32, v9
	v_cmp_gt_i32_e64 s0, s15, v0
	v_cmp_eq_u32_e64 s1, 31, v0
	v_cndmask_b32_e32 v9, v6, v9, vcc_lo
	v_cmp_gt_i32_e32 vcc_lo, 32, v10
	v_lshlrev_b32_e32 v12, 2, v9
	v_cndmask_b32_e32 v13, v6, v10, vcc_lo
	v_cmp_gt_i32_e32 vcc_lo, 32, v11
	v_lshlrev_b32_e32 v10, 2, v7
	s_waitcnt lgkmcnt(0)
	s_sub_i32 s13, s2, s12
	s_sub_i32 s18, s3, s12
	v_cndmask_b32_e32 v14, v6, v11, vcc_lo
	v_mad_u64_u32 v[6:7], null, s14, s13, v[5:6]
	s_cmp_lt_i32 s2, s3
	s_waitcnt vmcnt(0)
	v_cmp_eq_f32_e32 vcc_lo, 0, v3
	v_cmp_eq_f32_e64 s2, 0, v4
	v_lshlrev_b32_e32 v11, 2, v8
	v_lshlrev_b32_e32 v13, 2, v13
	;; [unrolled: 1-line block ×3, first 2 shown]
	v_mul_lo_u32 v15, s15, v6
	s_cselect_b32 s19, -1, 0
	s_cmp_lg_u32 s20, 0
	s_cselect_b32 s20, -1, 0
	s_and_b32 s21, vcc_lo, s2
	s_lshl_b32 s22, s15, 5
	s_branch .LBB14_6
.LBB14_5:                               ;   in Loop: Header=BB14_6 Depth=1
	s_or_b32 exec_lo, exec_lo, s2
	v_add_nc_u32_e32 v5, 32, v5
	v_add_nc_u32_e32 v15, s22, v15
	v_cmp_le_i32_e32 vcc_lo, s14, v5
	s_or_b32 s7, vcc_lo, s7
	s_andn2_b32 exec_lo, exec_lo, s7
	s_cbranch_execz .LBB14_22
.LBB14_6:                               ; =>This Loop Header: Depth=1
                                        ;     Child Loop BB14_10 Depth 2
                                        ;       Child Loop BB14_13 Depth 3
	v_mov_b32_e32 v8, 0
	s_waitcnt lgkmcnt(0)
	v_mov_b32_e32 v9, 0
	s_andn2_b32 vcc_lo, exec_lo, s19
	s_cbranch_vccnz .LBB14_17
; %bb.7:                                ;   in Loop: Header=BB14_6 Depth=1
	v_mov_b32_e32 v8, 0
	v_mov_b32_e32 v16, v15
	;; [unrolled: 1-line block ×3, first 2 shown]
	s_mov_b32 s2, s13
	s_branch .LBB14_10
.LBB14_8:                               ;   in Loop: Header=BB14_10 Depth=2
	s_inst_prefetch 0x2
	s_or_b32 exec_lo, exec_lo, s25
.LBB14_9:                               ;   in Loop: Header=BB14_10 Depth=2
	s_or_b32 exec_lo, exec_lo, s24
	v_add_nc_u32_e32 v16, s23, v16
	s_add_i32 s2, s2, 1
	s_cmp_ge_i32 s2, s18
	s_cbranch_scc1 .LBB14_17
.LBB14_10:                              ;   Parent Loop BB14_6 Depth=1
                                        ; =>  This Loop Header: Depth=2
                                        ;       Child Loop BB14_13 Depth 3
	s_and_saveexec_b32 s24, s0
	s_cbranch_execz .LBB14_9
; %bb.11:                               ;   in Loop: Header=BB14_10 Depth=2
	s_ashr_i32 s3, s2, 31
	v_mov_b32_e32 v17, v0
	s_lshl_b64 s[26:27], s[2:3], 2
	s_mov_b32 s25, 0
	s_add_u32 s26, s10, s26
	s_addc_u32 s27, s11, s27
	s_load_dword s3, s[26:27], 0x0
	s_waitcnt lgkmcnt(0)
	s_sub_i32 s26, s3, s12
	s_mul_i32 s3, s2, s15
	s_mul_i32 s26, s26, s15
	s_inst_prefetch 0x1
	s_branch .LBB14_13
	.p2align	6
.LBB14_12:                              ;   in Loop: Header=BB14_13 Depth=3
	v_add_nc_u32_e32 v18, s26, v17
	v_ashrrev_i32_e32 v7, 31, v6
	v_add_nc_u32_e32 v17, 32, v17
	v_ashrrev_i32_e32 v19, 31, v18
	v_lshlrev_b64 v[6:7], 3, v[6:7]
	v_lshlrev_b64 v[18:19], 3, v[18:19]
	v_add_co_u32 v6, vcc_lo, s8, v6
	v_add_co_ci_u32_e64 v7, null, s9, v7, vcc_lo
	v_add_co_u32 v18, vcc_lo, s16, v18
	v_add_co_ci_u32_e64 v19, null, s17, v19, vcc_lo
	v_cmp_le_i32_e32 vcc_lo, s15, v17
	global_load_dwordx2 v[6:7], v[6:7], off
	global_load_dwordx2 v[18:19], v[18:19], off
	s_or_b32 s25, vcc_lo, s25
	s_waitcnt vmcnt(0)
	v_fmac_f32_e32 v9, v6, v18
	v_fmac_f32_e32 v8, v7, v18
	v_fma_f32 v9, -v7, v19, v9
	v_fmac_f32_e32 v8, v6, v19
	s_andn2_b32 exec_lo, exec_lo, s25
	s_cbranch_execz .LBB14_8
.LBB14_13:                              ;   Parent Loop BB14_6 Depth=1
                                        ;     Parent Loop BB14_10 Depth=2
                                        ; =>    This Inner Loop Header: Depth=3
	s_and_b32 vcc_lo, exec_lo, s20
	s_cbranch_vccz .LBB14_15
; %bb.14:                               ;   in Loop: Header=BB14_13 Depth=3
	v_add_nc_u32_e32 v6, s3, v17
	v_mad_u64_u32 v[6:7], null, v6, s14, v[5:6]
	s_cbranch_execnz .LBB14_12
	s_branch .LBB14_16
.LBB14_15:                              ;   in Loop: Header=BB14_13 Depth=3
                                        ; implicit-def: $vgpr6
.LBB14_16:                              ;   in Loop: Header=BB14_13 Depth=3
	v_add_nc_u32_e32 v6, v16, v17
	s_branch .LBB14_12
.LBB14_17:                              ;   in Loop: Header=BB14_6 Depth=1
	ds_bpermute_b32 v6, v10, v9
	ds_bpermute_b32 v7, v10, v8
	s_waitcnt lgkmcnt(1)
	v_add_f32_e32 v6, v9, v6
	s_waitcnt lgkmcnt(0)
	v_add_f32_e32 v7, v8, v7
	ds_bpermute_b32 v8, v11, v6
	ds_bpermute_b32 v9, v11, v7
	s_waitcnt lgkmcnt(1)
	v_add_f32_e32 v6, v6, v8
	s_waitcnt lgkmcnt(0)
	v_add_f32_e32 v7, v7, v9
	;; [unrolled: 6-line block ×4, first 2 shown]
	ds_bpermute_b32 v7, v14, v6
	ds_bpermute_b32 v9, v14, v8
	s_and_saveexec_b32 s2, s1
	s_cbranch_execz .LBB14_5
; %bb.18:                               ;   in Loop: Header=BB14_6 Depth=1
	s_waitcnt lgkmcnt(0)
	v_add_f32_e32 v8, v8, v9
	v_add_f32_e32 v9, v6, v7
	v_mul_f32_e64 v6, v8, -v2
	v_mul_f32_e32 v7, v1, v8
	v_add_nc_u32_e32 v8, s6, v5
	v_fmac_f32_e32 v6, v1, v9
	v_fmac_f32_e32 v7, v2, v9
	v_ashrrev_i32_e32 v9, 31, v8
	s_and_saveexec_b32 s3, s21
	s_xor_b32 s3, exec_lo, s3
	s_cbranch_execz .LBB14_20
; %bb.19:                               ;   in Loop: Header=BB14_6 Depth=1
	v_lshlrev_b64 v[8:9], 3, v[8:9]
	v_add_co_u32 v8, vcc_lo, s4, v8
	v_add_co_ci_u32_e64 v9, null, s5, v9, vcc_lo
	global_store_dwordx2 v[8:9], v[6:7], off
                                        ; implicit-def: $vgpr8
                                        ; implicit-def: $vgpr6
.LBB14_20:                              ;   in Loop: Header=BB14_6 Depth=1
	s_andn2_saveexec_b32 s3, s3
	s_cbranch_execz .LBB14_5
; %bb.21:                               ;   in Loop: Header=BB14_6 Depth=1
	v_lshlrev_b64 v[8:9], 3, v[8:9]
	v_add_co_u32 v8, vcc_lo, s4, v8
	v_add_co_ci_u32_e64 v9, null, s5, v9, vcc_lo
	global_load_dwordx2 v[16:17], v[8:9], off
	s_waitcnt vmcnt(0)
	v_fmac_f32_e32 v6, v3, v16
	v_fmac_f32_e32 v7, v4, v16
	v_fma_f32 v6, -v4, v17, v6
	v_fmac_f32_e32 v7, v3, v17
	global_store_dwordx2 v[8:9], v[6:7], off
	s_branch .LBB14_5
.LBB14_22:
	s_endpgm
	.section	.rodata,"a",@progbits
	.p2align	6, 0x0
	.amdhsa_kernel _ZN9rocsparseL23gebsrmvn_general_kernelILj1024ELj32E21rocsparse_complex_numIfEEEvi20rocsparse_direction_NS_24const_host_device_scalarIT1_EEPKiS8_PKS5_iiSA_S6_PS5_21rocsparse_index_base_b
		.amdhsa_group_segment_fixed_size 0
		.amdhsa_private_segment_fixed_size 0
		.amdhsa_kernarg_size 80
		.amdhsa_user_sgpr_count 6
		.amdhsa_user_sgpr_private_segment_buffer 1
		.amdhsa_user_sgpr_dispatch_ptr 0
		.amdhsa_user_sgpr_queue_ptr 0
		.amdhsa_user_sgpr_kernarg_segment_ptr 1
		.amdhsa_user_sgpr_dispatch_id 0
		.amdhsa_user_sgpr_flat_scratch_init 0
		.amdhsa_user_sgpr_private_segment_size 0
		.amdhsa_wavefront_size32 1
		.amdhsa_uses_dynamic_stack 0
		.amdhsa_system_sgpr_private_segment_wavefront_offset 0
		.amdhsa_system_sgpr_workgroup_id_x 1
		.amdhsa_system_sgpr_workgroup_id_y 0
		.amdhsa_system_sgpr_workgroup_id_z 0
		.amdhsa_system_sgpr_workgroup_info 0
		.amdhsa_system_vgpr_workitem_id 0
		.amdhsa_next_free_vgpr 20
		.amdhsa_next_free_sgpr 28
		.amdhsa_reserve_vcc 1
		.amdhsa_reserve_flat_scratch 0
		.amdhsa_float_round_mode_32 0
		.amdhsa_float_round_mode_16_64 0
		.amdhsa_float_denorm_mode_32 3
		.amdhsa_float_denorm_mode_16_64 3
		.amdhsa_dx10_clamp 1
		.amdhsa_ieee_mode 1
		.amdhsa_fp16_overflow 0
		.amdhsa_workgroup_processor_mode 1
		.amdhsa_memory_ordered 1
		.amdhsa_forward_progress 1
		.amdhsa_shared_vgpr_count 0
		.amdhsa_exception_fp_ieee_invalid_op 0
		.amdhsa_exception_fp_denorm_src 0
		.amdhsa_exception_fp_ieee_div_zero 0
		.amdhsa_exception_fp_ieee_overflow 0
		.amdhsa_exception_fp_ieee_underflow 0
		.amdhsa_exception_fp_ieee_inexact 0
		.amdhsa_exception_int_div_zero 0
	.end_amdhsa_kernel
	.section	.text._ZN9rocsparseL23gebsrmvn_general_kernelILj1024ELj32E21rocsparse_complex_numIfEEEvi20rocsparse_direction_NS_24const_host_device_scalarIT1_EEPKiS8_PKS5_iiSA_S6_PS5_21rocsparse_index_base_b,"axG",@progbits,_ZN9rocsparseL23gebsrmvn_general_kernelILj1024ELj32E21rocsparse_complex_numIfEEEvi20rocsparse_direction_NS_24const_host_device_scalarIT1_EEPKiS8_PKS5_iiSA_S6_PS5_21rocsparse_index_base_b,comdat
.Lfunc_end14:
	.size	_ZN9rocsparseL23gebsrmvn_general_kernelILj1024ELj32E21rocsparse_complex_numIfEEEvi20rocsparse_direction_NS_24const_host_device_scalarIT1_EEPKiS8_PKS5_iiSA_S6_PS5_21rocsparse_index_base_b, .Lfunc_end14-_ZN9rocsparseL23gebsrmvn_general_kernelILj1024ELj32E21rocsparse_complex_numIfEEEvi20rocsparse_direction_NS_24const_host_device_scalarIT1_EEPKiS8_PKS5_iiSA_S6_PS5_21rocsparse_index_base_b
                                        ; -- End function
	.set _ZN9rocsparseL23gebsrmvn_general_kernelILj1024ELj32E21rocsparse_complex_numIfEEEvi20rocsparse_direction_NS_24const_host_device_scalarIT1_EEPKiS8_PKS5_iiSA_S6_PS5_21rocsparse_index_base_b.num_vgpr, 20
	.set _ZN9rocsparseL23gebsrmvn_general_kernelILj1024ELj32E21rocsparse_complex_numIfEEEvi20rocsparse_direction_NS_24const_host_device_scalarIT1_EEPKiS8_PKS5_iiSA_S6_PS5_21rocsparse_index_base_b.num_agpr, 0
	.set _ZN9rocsparseL23gebsrmvn_general_kernelILj1024ELj32E21rocsparse_complex_numIfEEEvi20rocsparse_direction_NS_24const_host_device_scalarIT1_EEPKiS8_PKS5_iiSA_S6_PS5_21rocsparse_index_base_b.numbered_sgpr, 28
	.set _ZN9rocsparseL23gebsrmvn_general_kernelILj1024ELj32E21rocsparse_complex_numIfEEEvi20rocsparse_direction_NS_24const_host_device_scalarIT1_EEPKiS8_PKS5_iiSA_S6_PS5_21rocsparse_index_base_b.num_named_barrier, 0
	.set _ZN9rocsparseL23gebsrmvn_general_kernelILj1024ELj32E21rocsparse_complex_numIfEEEvi20rocsparse_direction_NS_24const_host_device_scalarIT1_EEPKiS8_PKS5_iiSA_S6_PS5_21rocsparse_index_base_b.private_seg_size, 0
	.set _ZN9rocsparseL23gebsrmvn_general_kernelILj1024ELj32E21rocsparse_complex_numIfEEEvi20rocsparse_direction_NS_24const_host_device_scalarIT1_EEPKiS8_PKS5_iiSA_S6_PS5_21rocsparse_index_base_b.uses_vcc, 1
	.set _ZN9rocsparseL23gebsrmvn_general_kernelILj1024ELj32E21rocsparse_complex_numIfEEEvi20rocsparse_direction_NS_24const_host_device_scalarIT1_EEPKiS8_PKS5_iiSA_S6_PS5_21rocsparse_index_base_b.uses_flat_scratch, 0
	.set _ZN9rocsparseL23gebsrmvn_general_kernelILj1024ELj32E21rocsparse_complex_numIfEEEvi20rocsparse_direction_NS_24const_host_device_scalarIT1_EEPKiS8_PKS5_iiSA_S6_PS5_21rocsparse_index_base_b.has_dyn_sized_stack, 0
	.set _ZN9rocsparseL23gebsrmvn_general_kernelILj1024ELj32E21rocsparse_complex_numIfEEEvi20rocsparse_direction_NS_24const_host_device_scalarIT1_EEPKiS8_PKS5_iiSA_S6_PS5_21rocsparse_index_base_b.has_recursion, 0
	.set _ZN9rocsparseL23gebsrmvn_general_kernelILj1024ELj32E21rocsparse_complex_numIfEEEvi20rocsparse_direction_NS_24const_host_device_scalarIT1_EEPKiS8_PKS5_iiSA_S6_PS5_21rocsparse_index_base_b.has_indirect_call, 0
	.section	.AMDGPU.csdata,"",@progbits
; Kernel info:
; codeLenInByte = 1112
; TotalNumSgprs: 30
; NumVgprs: 20
; ScratchSize: 0
; MemoryBound: 0
; FloatMode: 240
; IeeeMode: 1
; LDSByteSize: 0 bytes/workgroup (compile time only)
; SGPRBlocks: 0
; VGPRBlocks: 2
; NumSGPRsForWavesPerEU: 30
; NumVGPRsForWavesPerEU: 20
; Occupancy: 16
; WaveLimiterHint : 1
; COMPUTE_PGM_RSRC2:SCRATCH_EN: 0
; COMPUTE_PGM_RSRC2:USER_SGPR: 6
; COMPUTE_PGM_RSRC2:TRAP_HANDLER: 0
; COMPUTE_PGM_RSRC2:TGID_X_EN: 1
; COMPUTE_PGM_RSRC2:TGID_Y_EN: 0
; COMPUTE_PGM_RSRC2:TGID_Z_EN: 0
; COMPUTE_PGM_RSRC2:TIDIG_COMP_CNT: 0
	.section	.text._ZN9rocsparseL23gebsrmvn_general_kernelILj64ELj2E21rocsparse_complex_numIdEEEvi20rocsparse_direction_NS_24const_host_device_scalarIT1_EEPKiS8_PKS5_iiSA_S6_PS5_21rocsparse_index_base_b,"axG",@progbits,_ZN9rocsparseL23gebsrmvn_general_kernelILj64ELj2E21rocsparse_complex_numIdEEEvi20rocsparse_direction_NS_24const_host_device_scalarIT1_EEPKiS8_PKS5_iiSA_S6_PS5_21rocsparse_index_base_b,comdat
	.globl	_ZN9rocsparseL23gebsrmvn_general_kernelILj64ELj2E21rocsparse_complex_numIdEEEvi20rocsparse_direction_NS_24const_host_device_scalarIT1_EEPKiS8_PKS5_iiSA_S6_PS5_21rocsparse_index_base_b ; -- Begin function _ZN9rocsparseL23gebsrmvn_general_kernelILj64ELj2E21rocsparse_complex_numIdEEEvi20rocsparse_direction_NS_24const_host_device_scalarIT1_EEPKiS8_PKS5_iiSA_S6_PS5_21rocsparse_index_base_b
	.p2align	8
	.type	_ZN9rocsparseL23gebsrmvn_general_kernelILj64ELj2E21rocsparse_complex_numIdEEEvi20rocsparse_direction_NS_24const_host_device_scalarIT1_EEPKiS8_PKS5_iiSA_S6_PS5_21rocsparse_index_base_b,@function
_ZN9rocsparseL23gebsrmvn_general_kernelILj64ELj2E21rocsparse_complex_numIdEEEvi20rocsparse_direction_NS_24const_host_device_scalarIT1_EEPKiS8_PKS5_iiSA_S6_PS5_21rocsparse_index_base_b: ; @_ZN9rocsparseL23gebsrmvn_general_kernelILj64ELj2E21rocsparse_complex_numIdEEEvi20rocsparse_direction_NS_24const_host_device_scalarIT1_EEPKiS8_PKS5_iiSA_S6_PS5_21rocsparse_index_base_b
; %bb.0:
	s_clause 0x1
	s_load_dwordx2 s[12:13], s[4:5], 0x58
	s_load_dwordx2 s[0:1], s[4:5], 0x8
	s_add_u32 s7, s4, 8
	s_addc_u32 s8, s5, 0
	s_add_u32 s9, s4, 64
	s_addc_u32 s10, s5, 0
	s_load_dwordx2 s[2:3], s[4:5], 0x40
	s_waitcnt lgkmcnt(0)
	s_bitcmp1_b32 s13, 0
	s_cselect_b32 s0, s7, s0
	s_cselect_b32 s1, s8, s1
	v_mov_b32_e32 v1, s0
	v_mov_b32_e32 v2, s1
	s_cselect_b32 s0, s9, s2
	s_cselect_b32 s1, s10, s3
	v_mov_b32_e32 v5, s0
	v_mov_b32_e32 v6, s1
	flat_load_dwordx4 v[1:4], v[1:2]
	flat_load_dwordx4 v[5:8], v[5:6]
	s_waitcnt vmcnt(1) lgkmcnt(1)
	v_cmp_eq_f64_e32 vcc_lo, 0, v[1:2]
	v_cmp_eq_f64_e64 s0, 0, v[3:4]
	s_and_b32 s2, vcc_lo, s0
	s_mov_b32 s0, -1
	s_and_saveexec_b32 s1, s2
	s_cbranch_execz .LBB15_2
; %bb.1:
	s_waitcnt vmcnt(0) lgkmcnt(0)
	v_cmp_neq_f64_e32 vcc_lo, 1.0, v[5:6]
	v_cmp_neq_f64_e64 s0, 0, v[7:8]
	s_or_b32 s0, vcc_lo, s0
	s_orn2_b32 s0, s0, exec_lo
.LBB15_2:
	s_or_b32 exec_lo, exec_lo, s1
	s_and_saveexec_b32 s1, s0
	s_cbranch_execz .LBB15_22
; %bb.3:
	s_load_dwordx2 s[14:15], s[4:5], 0x30
	v_lshrrev_b32_e32 v13, 1, v0
	s_waitcnt lgkmcnt(0)
	v_cmp_gt_i32_e32 vcc_lo, s14, v13
	s_and_b32 exec_lo, exec_lo, vcc_lo
	s_cbranch_execz .LBB15_22
; %bb.4:
	s_clause 0x1
	s_load_dwordx4 s[8:11], s[4:5], 0x18
	s_load_dword s3, s[4:5], 0x4
	s_ashr_i32 s7, s6, 31
	v_mbcnt_lo_u32_b32 v11, -1, 0
	s_lshl_b64 s[0:1], s[6:7], 2
	s_waitcnt vmcnt(0)
	v_cmp_eq_f64_e32 vcc_lo, 0, v[5:6]
	v_cmp_eq_f64_e64 s2, 0, v[7:8]
	v_and_b32_e32 v0, 1, v0
	v_xor_b32_e32 v12, 1, v11
	s_mov_b32 s19, 0
	s_mul_i32 s6, s14, s6
	s_mul_i32 s23, s15, s14
	s_waitcnt lgkmcnt(0)
	s_add_u32 s0, s8, s0
	s_addc_u32 s1, s9, s1
	s_load_dwordx2 s[0:1], s[0:1], 0x0
	s_clause 0x2
	s_load_dwordx2 s[8:9], s[4:5], 0x50
	s_load_dwordx2 s[16:17], s[4:5], 0x28
	;; [unrolled: 1-line block ×3, first 2 shown]
	s_waitcnt lgkmcnt(0)
	s_sub_i32 s7, s0, s12
	s_sub_i32 s13, s1, s12
	v_mad_u64_u32 v[9:10], null, s14, s7, v[13:14]
	s_cmp_lt_i32 s0, s1
	v_cmp_gt_i32_e64 s0, 32, v12
	v_cmp_eq_u32_e64 s1, 1, v0
	s_cselect_b32 s18, -1, 0
	s_cmp_lg_u32 s3, 0
	v_cndmask_b32_e64 v10, v11, v12, s0
	v_mul_lo_u32 v19, s15, v9
	v_cmp_gt_i32_e64 s0, s15, v0
	s_cselect_b32 s20, -1, 0
	s_and_b32 s21, vcc_lo, s2
	v_lshlrev_b32_e32 v18, 2, v10
	s_lshl_b32 s22, s15, 5
	s_branch .LBB15_6
.LBB15_5:                               ;   in Loop: Header=BB15_6 Depth=1
	s_or_b32 exec_lo, exec_lo, s2
	v_add_nc_u32_e32 v13, 32, v13
	v_add_nc_u32_e32 v19, s22, v19
	v_cmp_le_i32_e32 vcc_lo, s14, v13
	s_or_b32 s19, vcc_lo, s19
	s_andn2_b32 exec_lo, exec_lo, s19
	s_cbranch_execz .LBB15_22
.LBB15_6:                               ; =>This Loop Header: Depth=1
                                        ;     Child Loop BB15_10 Depth 2
                                        ;       Child Loop BB15_13 Depth 3
	v_mov_b32_e32 v9, 0
	v_mov_b32_e32 v11, 0
	;; [unrolled: 1-line block ×4, first 2 shown]
	s_andn2_b32 vcc_lo, exec_lo, s18
	s_cbranch_vccnz .LBB15_17
; %bb.7:                                ;   in Loop: Header=BB15_6 Depth=1
	v_mov_b32_e32 v9, 0
	v_mov_b32_e32 v11, 0
	;; [unrolled: 1-line block ×4, first 2 shown]
	s_waitcnt lgkmcnt(1)
	v_mov_b32_e32 v16, v19
	s_mov_b32 s2, s7
	s_branch .LBB15_10
.LBB15_8:                               ;   in Loop: Header=BB15_10 Depth=2
	s_inst_prefetch 0x2
	s_or_b32 exec_lo, exec_lo, s25
.LBB15_9:                               ;   in Loop: Header=BB15_10 Depth=2
	s_or_b32 exec_lo, exec_lo, s24
	v_add_nc_u32_e32 v16, s23, v16
	s_add_i32 s2, s2, 1
	s_cmp_ge_i32 s2, s13
	s_cbranch_scc1 .LBB15_17
.LBB15_10:                              ;   Parent Loop BB15_6 Depth=1
                                        ; =>  This Loop Header: Depth=2
                                        ;       Child Loop BB15_13 Depth 3
	s_and_saveexec_b32 s24, s0
	s_cbranch_execz .LBB15_9
; %bb.11:                               ;   in Loop: Header=BB15_10 Depth=2
	s_ashr_i32 s3, s2, 31
	s_waitcnt lgkmcnt(0)
	v_mov_b32_e32 v17, v0
	s_lshl_b64 s[26:27], s[2:3], 2
	s_mov_b32 s25, 0
	s_add_u32 s26, s10, s26
	s_addc_u32 s27, s11, s27
	s_load_dword s3, s[26:27], 0x0
	s_waitcnt lgkmcnt(0)
	s_sub_i32 s26, s3, s12
	s_mul_i32 s3, s2, s15
	s_mul_i32 s26, s26, s15
	s_inst_prefetch 0x1
	s_branch .LBB15_13
	.p2align	6
.LBB15_12:                              ;   in Loop: Header=BB15_13 Depth=3
	v_add_nc_u32_e32 v20, s26, v17
	v_ashrrev_i32_e32 v15, 31, v14
	v_add_nc_u32_e32 v17, 2, v17
	v_ashrrev_i32_e32 v21, 31, v20
	v_lshlrev_b64 v[14:15], 4, v[14:15]
	v_lshlrev_b64 v[20:21], 4, v[20:21]
	v_add_co_u32 v14, vcc_lo, s16, v14
	v_add_co_ci_u32_e64 v15, null, s17, v15, vcc_lo
	v_add_co_u32 v24, vcc_lo, s4, v20
	v_add_co_ci_u32_e64 v25, null, s5, v21, vcc_lo
	v_cmp_le_i32_e32 vcc_lo, s15, v17
	global_load_dwordx4 v[20:23], v[14:15], off
	global_load_dwordx4 v[24:27], v[24:25], off
	s_or_b32 s25, vcc_lo, s25
	s_waitcnt vmcnt(0)
	v_fma_f64 v[11:12], v[20:21], v[24:25], v[11:12]
	v_fma_f64 v[9:10], v[22:23], v[24:25], v[9:10]
	v_fma_f64 v[11:12], -v[22:23], v[26:27], v[11:12]
	v_fma_f64 v[9:10], v[20:21], v[26:27], v[9:10]
	s_andn2_b32 exec_lo, exec_lo, s25
	s_cbranch_execz .LBB15_8
.LBB15_13:                              ;   Parent Loop BB15_6 Depth=1
                                        ;     Parent Loop BB15_10 Depth=2
                                        ; =>    This Inner Loop Header: Depth=3
	s_and_b32 vcc_lo, exec_lo, s20
	s_cbranch_vccz .LBB15_15
; %bb.14:                               ;   in Loop: Header=BB15_13 Depth=3
	v_add_nc_u32_e32 v14, s3, v17
	v_mad_u64_u32 v[14:15], null, v14, s14, v[13:14]
	s_cbranch_execnz .LBB15_12
	s_branch .LBB15_16
.LBB15_15:                              ;   in Loop: Header=BB15_13 Depth=3
                                        ; implicit-def: $vgpr14
.LBB15_16:                              ;   in Loop: Header=BB15_13 Depth=3
	v_add_nc_u32_e32 v14, v16, v17
	s_branch .LBB15_12
.LBB15_17:                              ;   in Loop: Header=BB15_6 Depth=1
	s_waitcnt lgkmcnt(3)
	ds_bpermute_b32 v14, v18, v11
	s_waitcnt lgkmcnt(3)
	ds_bpermute_b32 v15, v18, v12
	;; [unrolled: 2-line block ×4, first 2 shown]
	s_and_saveexec_b32 s2, s1
	s_cbranch_execz .LBB15_5
; %bb.18:                               ;   in Loop: Header=BB15_6 Depth=1
	s_waitcnt lgkmcnt(0)
	v_add_f64 v[9:10], v[9:10], v[16:17]
	v_add_f64 v[11:12], v[11:12], v[14:15]
	v_mul_f64 v[14:15], v[9:10], -v[3:4]
	v_mul_f64 v[16:17], v[1:2], v[9:10]
	v_fma_f64 v[9:10], v[1:2], v[11:12], v[14:15]
	v_fma_f64 v[11:12], v[3:4], v[11:12], v[16:17]
	v_add_nc_u32_e32 v14, s6, v13
	v_ashrrev_i32_e32 v15, 31, v14
	s_and_saveexec_b32 s3, s21
	s_xor_b32 s3, exec_lo, s3
	s_cbranch_execz .LBB15_20
; %bb.19:                               ;   in Loop: Header=BB15_6 Depth=1
	v_lshlrev_b64 v[14:15], 4, v[14:15]
	v_add_co_u32 v14, vcc_lo, s8, v14
	v_add_co_ci_u32_e64 v15, null, s9, v15, vcc_lo
	global_store_dwordx4 v[14:15], v[9:12], off
                                        ; implicit-def: $vgpr14
                                        ; implicit-def: $vgpr9_vgpr10
.LBB15_20:                              ;   in Loop: Header=BB15_6 Depth=1
	s_andn2_saveexec_b32 s3, s3
	s_cbranch_execz .LBB15_5
; %bb.21:                               ;   in Loop: Header=BB15_6 Depth=1
	v_lshlrev_b64 v[14:15], 4, v[14:15]
	v_add_co_u32 v20, vcc_lo, s8, v14
	v_add_co_ci_u32_e64 v21, null, s9, v15, vcc_lo
	global_load_dwordx4 v[14:17], v[20:21], off
	s_waitcnt vmcnt(0)
	v_fma_f64 v[9:10], v[5:6], v[14:15], v[9:10]
	v_fma_f64 v[11:12], v[7:8], v[14:15], v[11:12]
	v_fma_f64 v[9:10], -v[7:8], v[16:17], v[9:10]
	v_fma_f64 v[11:12], v[5:6], v[16:17], v[11:12]
	global_store_dwordx4 v[20:21], v[9:12], off
	s_branch .LBB15_5
.LBB15_22:
	s_endpgm
	.section	.rodata,"a",@progbits
	.p2align	6, 0x0
	.amdhsa_kernel _ZN9rocsparseL23gebsrmvn_general_kernelILj64ELj2E21rocsparse_complex_numIdEEEvi20rocsparse_direction_NS_24const_host_device_scalarIT1_EEPKiS8_PKS5_iiSA_S6_PS5_21rocsparse_index_base_b
		.amdhsa_group_segment_fixed_size 0
		.amdhsa_private_segment_fixed_size 0
		.amdhsa_kernarg_size 96
		.amdhsa_user_sgpr_count 6
		.amdhsa_user_sgpr_private_segment_buffer 1
		.amdhsa_user_sgpr_dispatch_ptr 0
		.amdhsa_user_sgpr_queue_ptr 0
		.amdhsa_user_sgpr_kernarg_segment_ptr 1
		.amdhsa_user_sgpr_dispatch_id 0
		.amdhsa_user_sgpr_flat_scratch_init 0
		.amdhsa_user_sgpr_private_segment_size 0
		.amdhsa_wavefront_size32 1
		.amdhsa_uses_dynamic_stack 0
		.amdhsa_system_sgpr_private_segment_wavefront_offset 0
		.amdhsa_system_sgpr_workgroup_id_x 1
		.amdhsa_system_sgpr_workgroup_id_y 0
		.amdhsa_system_sgpr_workgroup_id_z 0
		.amdhsa_system_sgpr_workgroup_info 0
		.amdhsa_system_vgpr_workitem_id 0
		.amdhsa_next_free_vgpr 28
		.amdhsa_next_free_sgpr 28
		.amdhsa_reserve_vcc 1
		.amdhsa_reserve_flat_scratch 0
		.amdhsa_float_round_mode_32 0
		.amdhsa_float_round_mode_16_64 0
		.amdhsa_float_denorm_mode_32 3
		.amdhsa_float_denorm_mode_16_64 3
		.amdhsa_dx10_clamp 1
		.amdhsa_ieee_mode 1
		.amdhsa_fp16_overflow 0
		.amdhsa_workgroup_processor_mode 1
		.amdhsa_memory_ordered 1
		.amdhsa_forward_progress 1
		.amdhsa_shared_vgpr_count 0
		.amdhsa_exception_fp_ieee_invalid_op 0
		.amdhsa_exception_fp_denorm_src 0
		.amdhsa_exception_fp_ieee_div_zero 0
		.amdhsa_exception_fp_ieee_overflow 0
		.amdhsa_exception_fp_ieee_underflow 0
		.amdhsa_exception_fp_ieee_inexact 0
		.amdhsa_exception_int_div_zero 0
	.end_amdhsa_kernel
	.section	.text._ZN9rocsparseL23gebsrmvn_general_kernelILj64ELj2E21rocsparse_complex_numIdEEEvi20rocsparse_direction_NS_24const_host_device_scalarIT1_EEPKiS8_PKS5_iiSA_S6_PS5_21rocsparse_index_base_b,"axG",@progbits,_ZN9rocsparseL23gebsrmvn_general_kernelILj64ELj2E21rocsparse_complex_numIdEEEvi20rocsparse_direction_NS_24const_host_device_scalarIT1_EEPKiS8_PKS5_iiSA_S6_PS5_21rocsparse_index_base_b,comdat
.Lfunc_end15:
	.size	_ZN9rocsparseL23gebsrmvn_general_kernelILj64ELj2E21rocsparse_complex_numIdEEEvi20rocsparse_direction_NS_24const_host_device_scalarIT1_EEPKiS8_PKS5_iiSA_S6_PS5_21rocsparse_index_base_b, .Lfunc_end15-_ZN9rocsparseL23gebsrmvn_general_kernelILj64ELj2E21rocsparse_complex_numIdEEEvi20rocsparse_direction_NS_24const_host_device_scalarIT1_EEPKiS8_PKS5_iiSA_S6_PS5_21rocsparse_index_base_b
                                        ; -- End function
	.set _ZN9rocsparseL23gebsrmvn_general_kernelILj64ELj2E21rocsparse_complex_numIdEEEvi20rocsparse_direction_NS_24const_host_device_scalarIT1_EEPKiS8_PKS5_iiSA_S6_PS5_21rocsparse_index_base_b.num_vgpr, 28
	.set _ZN9rocsparseL23gebsrmvn_general_kernelILj64ELj2E21rocsparse_complex_numIdEEEvi20rocsparse_direction_NS_24const_host_device_scalarIT1_EEPKiS8_PKS5_iiSA_S6_PS5_21rocsparse_index_base_b.num_agpr, 0
	.set _ZN9rocsparseL23gebsrmvn_general_kernelILj64ELj2E21rocsparse_complex_numIdEEEvi20rocsparse_direction_NS_24const_host_device_scalarIT1_EEPKiS8_PKS5_iiSA_S6_PS5_21rocsparse_index_base_b.numbered_sgpr, 28
	.set _ZN9rocsparseL23gebsrmvn_general_kernelILj64ELj2E21rocsparse_complex_numIdEEEvi20rocsparse_direction_NS_24const_host_device_scalarIT1_EEPKiS8_PKS5_iiSA_S6_PS5_21rocsparse_index_base_b.num_named_barrier, 0
	.set _ZN9rocsparseL23gebsrmvn_general_kernelILj64ELj2E21rocsparse_complex_numIdEEEvi20rocsparse_direction_NS_24const_host_device_scalarIT1_EEPKiS8_PKS5_iiSA_S6_PS5_21rocsparse_index_base_b.private_seg_size, 0
	.set _ZN9rocsparseL23gebsrmvn_general_kernelILj64ELj2E21rocsparse_complex_numIdEEEvi20rocsparse_direction_NS_24const_host_device_scalarIT1_EEPKiS8_PKS5_iiSA_S6_PS5_21rocsparse_index_base_b.uses_vcc, 1
	.set _ZN9rocsparseL23gebsrmvn_general_kernelILj64ELj2E21rocsparse_complex_numIdEEEvi20rocsparse_direction_NS_24const_host_device_scalarIT1_EEPKiS8_PKS5_iiSA_S6_PS5_21rocsparse_index_base_b.uses_flat_scratch, 0
	.set _ZN9rocsparseL23gebsrmvn_general_kernelILj64ELj2E21rocsparse_complex_numIdEEEvi20rocsparse_direction_NS_24const_host_device_scalarIT1_EEPKiS8_PKS5_iiSA_S6_PS5_21rocsparse_index_base_b.has_dyn_sized_stack, 0
	.set _ZN9rocsparseL23gebsrmvn_general_kernelILj64ELj2E21rocsparse_complex_numIdEEEvi20rocsparse_direction_NS_24const_host_device_scalarIT1_EEPKiS8_PKS5_iiSA_S6_PS5_21rocsparse_index_base_b.has_recursion, 0
	.set _ZN9rocsparseL23gebsrmvn_general_kernelILj64ELj2E21rocsparse_complex_numIdEEEvi20rocsparse_direction_NS_24const_host_device_scalarIT1_EEPKiS8_PKS5_iiSA_S6_PS5_21rocsparse_index_base_b.has_indirect_call, 0
	.section	.AMDGPU.csdata,"",@progbits
; Kernel info:
; codeLenInByte = 1060
; TotalNumSgprs: 30
; NumVgprs: 28
; ScratchSize: 0
; MemoryBound: 0
; FloatMode: 240
; IeeeMode: 1
; LDSByteSize: 0 bytes/workgroup (compile time only)
; SGPRBlocks: 0
; VGPRBlocks: 3
; NumSGPRsForWavesPerEU: 30
; NumVGPRsForWavesPerEU: 28
; Occupancy: 16
; WaveLimiterHint : 1
; COMPUTE_PGM_RSRC2:SCRATCH_EN: 0
; COMPUTE_PGM_RSRC2:USER_SGPR: 6
; COMPUTE_PGM_RSRC2:TRAP_HANDLER: 0
; COMPUTE_PGM_RSRC2:TGID_X_EN: 1
; COMPUTE_PGM_RSRC2:TGID_Y_EN: 0
; COMPUTE_PGM_RSRC2:TGID_Z_EN: 0
; COMPUTE_PGM_RSRC2:TIDIG_COMP_CNT: 0
	.section	.text._ZN9rocsparseL23gebsrmvn_general_kernelILj128ELj4E21rocsparse_complex_numIdEEEvi20rocsparse_direction_NS_24const_host_device_scalarIT1_EEPKiS8_PKS5_iiSA_S6_PS5_21rocsparse_index_base_b,"axG",@progbits,_ZN9rocsparseL23gebsrmvn_general_kernelILj128ELj4E21rocsparse_complex_numIdEEEvi20rocsparse_direction_NS_24const_host_device_scalarIT1_EEPKiS8_PKS5_iiSA_S6_PS5_21rocsparse_index_base_b,comdat
	.globl	_ZN9rocsparseL23gebsrmvn_general_kernelILj128ELj4E21rocsparse_complex_numIdEEEvi20rocsparse_direction_NS_24const_host_device_scalarIT1_EEPKiS8_PKS5_iiSA_S6_PS5_21rocsparse_index_base_b ; -- Begin function _ZN9rocsparseL23gebsrmvn_general_kernelILj128ELj4E21rocsparse_complex_numIdEEEvi20rocsparse_direction_NS_24const_host_device_scalarIT1_EEPKiS8_PKS5_iiSA_S6_PS5_21rocsparse_index_base_b
	.p2align	8
	.type	_ZN9rocsparseL23gebsrmvn_general_kernelILj128ELj4E21rocsparse_complex_numIdEEEvi20rocsparse_direction_NS_24const_host_device_scalarIT1_EEPKiS8_PKS5_iiSA_S6_PS5_21rocsparse_index_base_b,@function
_ZN9rocsparseL23gebsrmvn_general_kernelILj128ELj4E21rocsparse_complex_numIdEEEvi20rocsparse_direction_NS_24const_host_device_scalarIT1_EEPKiS8_PKS5_iiSA_S6_PS5_21rocsparse_index_base_b: ; @_ZN9rocsparseL23gebsrmvn_general_kernelILj128ELj4E21rocsparse_complex_numIdEEEvi20rocsparse_direction_NS_24const_host_device_scalarIT1_EEPKiS8_PKS5_iiSA_S6_PS5_21rocsparse_index_base_b
; %bb.0:
	s_clause 0x1
	s_load_dwordx2 s[12:13], s[4:5], 0x58
	s_load_dwordx2 s[0:1], s[4:5], 0x8
	s_add_u32 s7, s4, 8
	s_addc_u32 s8, s5, 0
	s_add_u32 s9, s4, 64
	s_addc_u32 s10, s5, 0
	s_load_dwordx2 s[2:3], s[4:5], 0x40
	s_waitcnt lgkmcnt(0)
	s_bitcmp1_b32 s13, 0
	s_cselect_b32 s0, s7, s0
	s_cselect_b32 s1, s8, s1
	v_mov_b32_e32 v1, s0
	v_mov_b32_e32 v2, s1
	s_cselect_b32 s0, s9, s2
	s_cselect_b32 s1, s10, s3
	v_mov_b32_e32 v5, s0
	v_mov_b32_e32 v6, s1
	flat_load_dwordx4 v[1:4], v[1:2]
	flat_load_dwordx4 v[5:8], v[5:6]
	s_waitcnt vmcnt(1) lgkmcnt(1)
	v_cmp_eq_f64_e32 vcc_lo, 0, v[1:2]
	v_cmp_eq_f64_e64 s0, 0, v[3:4]
	s_and_b32 s2, vcc_lo, s0
	s_mov_b32 s0, -1
	s_and_saveexec_b32 s1, s2
	s_cbranch_execz .LBB16_2
; %bb.1:
	s_waitcnt vmcnt(0) lgkmcnt(0)
	v_cmp_neq_f64_e32 vcc_lo, 1.0, v[5:6]
	v_cmp_neq_f64_e64 s0, 0, v[7:8]
	s_or_b32 s0, vcc_lo, s0
	s_orn2_b32 s0, s0, exec_lo
.LBB16_2:
	s_or_b32 exec_lo, exec_lo, s1
	s_and_saveexec_b32 s1, s0
	s_cbranch_execz .LBB16_22
; %bb.3:
	s_load_dwordx2 s[14:15], s[4:5], 0x30
	v_lshrrev_b32_e32 v13, 2, v0
	s_waitcnt lgkmcnt(0)
	v_cmp_gt_i32_e32 vcc_lo, s14, v13
	s_and_b32 exec_lo, exec_lo, vcc_lo
	s_cbranch_execz .LBB16_22
; %bb.4:
	s_clause 0x1
	s_load_dwordx4 s[8:11], s[4:5], 0x18
	s_load_dword s3, s[4:5], 0x4
	s_ashr_i32 s7, s6, 31
	v_mbcnt_lo_u32_b32 v11, -1, 0
	s_lshl_b64 s[0:1], s[6:7], 2
	s_waitcnt vmcnt(0)
	v_cmp_eq_f64_e32 vcc_lo, 0, v[5:6]
	v_cmp_eq_f64_e64 s2, 0, v[7:8]
	v_and_b32_e32 v0, 3, v0
	v_xor_b32_e32 v9, 2, v11
	v_xor_b32_e32 v12, 1, v11
	s_mul_i32 s6, s14, s6
	s_mul_i32 s23, s15, s14
	s_waitcnt lgkmcnt(0)
	s_add_u32 s0, s8, s0
	s_addc_u32 s1, s9, s1
	s_load_dwordx2 s[18:19], s[0:1], 0x0
	v_cmp_gt_i32_e64 s1, 32, v9
	s_clause 0x2
	s_load_dwordx2 s[8:9], s[4:5], 0x50
	s_load_dwordx2 s[16:17], s[4:5], 0x28
	;; [unrolled: 1-line block ×3, first 2 shown]
	v_cmp_gt_i32_e64 s0, s15, v0
	v_cndmask_b32_e64 v14, v11, v9, s1
	v_cmp_gt_i32_e64 s1, 32, v12
	v_lshlrev_b32_e32 v18, 2, v14
	s_waitcnt lgkmcnt(0)
	s_sub_i32 s7, s18, s12
	s_sub_i32 s13, s19, s12
	v_mad_u64_u32 v[9:10], null, s14, s7, v[13:14]
	v_cndmask_b32_e64 v10, v11, v12, s1
	s_cmp_lt_i32 s18, s19
	v_cmp_eq_u32_e64 s1, 3, v0
	s_cselect_b32 s18, -1, 0
	s_cmp_lg_u32 s3, 0
	v_lshlrev_b32_e32 v19, 2, v10
	v_mul_lo_u32 v20, s15, v9
	s_mov_b32 s19, 0
	s_cselect_b32 s20, -1, 0
	s_and_b32 s21, vcc_lo, s2
	s_lshl_b32 s22, s15, 5
	s_branch .LBB16_6
.LBB16_5:                               ;   in Loop: Header=BB16_6 Depth=1
	s_or_b32 exec_lo, exec_lo, s2
	v_add_nc_u32_e32 v13, 32, v13
	v_add_nc_u32_e32 v20, s22, v20
	v_cmp_le_i32_e32 vcc_lo, s14, v13
	s_or_b32 s19, vcc_lo, s19
	s_andn2_b32 exec_lo, exec_lo, s19
	s_cbranch_execz .LBB16_22
.LBB16_6:                               ; =>This Loop Header: Depth=1
                                        ;     Child Loop BB16_10 Depth 2
                                        ;       Child Loop BB16_13 Depth 3
	v_mov_b32_e32 v9, 0
	v_mov_b32_e32 v11, 0
	;; [unrolled: 1-line block ×4, first 2 shown]
	s_andn2_b32 vcc_lo, exec_lo, s18
	s_cbranch_vccnz .LBB16_17
; %bb.7:                                ;   in Loop: Header=BB16_6 Depth=1
	v_mov_b32_e32 v9, 0
	v_mov_b32_e32 v11, 0
	;; [unrolled: 1-line block ×4, first 2 shown]
	s_waitcnt lgkmcnt(1)
	v_mov_b32_e32 v16, v20
	s_mov_b32 s2, s7
	s_branch .LBB16_10
.LBB16_8:                               ;   in Loop: Header=BB16_10 Depth=2
	s_inst_prefetch 0x2
	s_or_b32 exec_lo, exec_lo, s25
.LBB16_9:                               ;   in Loop: Header=BB16_10 Depth=2
	s_or_b32 exec_lo, exec_lo, s24
	v_add_nc_u32_e32 v16, s23, v16
	s_add_i32 s2, s2, 1
	s_cmp_ge_i32 s2, s13
	s_cbranch_scc1 .LBB16_17
.LBB16_10:                              ;   Parent Loop BB16_6 Depth=1
                                        ; =>  This Loop Header: Depth=2
                                        ;       Child Loop BB16_13 Depth 3
	s_and_saveexec_b32 s24, s0
	s_cbranch_execz .LBB16_9
; %bb.11:                               ;   in Loop: Header=BB16_10 Depth=2
	s_ashr_i32 s3, s2, 31
	s_waitcnt lgkmcnt(0)
	v_mov_b32_e32 v17, v0
	s_lshl_b64 s[26:27], s[2:3], 2
	s_mov_b32 s25, 0
	s_add_u32 s26, s10, s26
	s_addc_u32 s27, s11, s27
	s_load_dword s3, s[26:27], 0x0
	s_waitcnt lgkmcnt(0)
	s_sub_i32 s26, s3, s12
	s_mul_i32 s3, s2, s15
	s_mul_i32 s26, s26, s15
	s_inst_prefetch 0x1
	s_branch .LBB16_13
	.p2align	6
.LBB16_12:                              ;   in Loop: Header=BB16_13 Depth=3
	v_add_nc_u32_e32 v21, s26, v17
	v_ashrrev_i32_e32 v15, 31, v14
	v_add_nc_u32_e32 v17, 4, v17
	v_ashrrev_i32_e32 v22, 31, v21
	v_lshlrev_b64 v[14:15], 4, v[14:15]
	v_lshlrev_b64 v[21:22], 4, v[21:22]
	v_add_co_u32 v14, vcc_lo, s16, v14
	v_add_co_ci_u32_e64 v15, null, s17, v15, vcc_lo
	v_add_co_u32 v25, vcc_lo, s4, v21
	v_add_co_ci_u32_e64 v26, null, s5, v22, vcc_lo
	v_cmp_le_i32_e32 vcc_lo, s15, v17
	global_load_dwordx4 v[21:24], v[14:15], off
	global_load_dwordx4 v[25:28], v[25:26], off
	s_or_b32 s25, vcc_lo, s25
	s_waitcnt vmcnt(0)
	v_fma_f64 v[11:12], v[21:22], v[25:26], v[11:12]
	v_fma_f64 v[9:10], v[23:24], v[25:26], v[9:10]
	v_fma_f64 v[11:12], -v[23:24], v[27:28], v[11:12]
	v_fma_f64 v[9:10], v[21:22], v[27:28], v[9:10]
	s_andn2_b32 exec_lo, exec_lo, s25
	s_cbranch_execz .LBB16_8
.LBB16_13:                              ;   Parent Loop BB16_6 Depth=1
                                        ;     Parent Loop BB16_10 Depth=2
                                        ; =>    This Inner Loop Header: Depth=3
	s_and_b32 vcc_lo, exec_lo, s20
	s_cbranch_vccz .LBB16_15
; %bb.14:                               ;   in Loop: Header=BB16_13 Depth=3
	v_add_nc_u32_e32 v14, s3, v17
	v_mad_u64_u32 v[14:15], null, v14, s14, v[13:14]
	s_cbranch_execnz .LBB16_12
	s_branch .LBB16_16
.LBB16_15:                              ;   in Loop: Header=BB16_13 Depth=3
                                        ; implicit-def: $vgpr14
.LBB16_16:                              ;   in Loop: Header=BB16_13 Depth=3
	v_add_nc_u32_e32 v14, v16, v17
	s_branch .LBB16_12
.LBB16_17:                              ;   in Loop: Header=BB16_6 Depth=1
	s_waitcnt lgkmcnt(3)
	ds_bpermute_b32 v14, v18, v11
	s_waitcnt lgkmcnt(3)
	ds_bpermute_b32 v15, v18, v12
	;; [unrolled: 2-line block ×4, first 2 shown]
	s_waitcnt lgkmcnt(2)
	v_add_f64 v[11:12], v[11:12], v[14:15]
	s_waitcnt lgkmcnt(0)
	v_add_f64 v[9:10], v[9:10], v[16:17]
	ds_bpermute_b32 v14, v19, v11
	ds_bpermute_b32 v15, v19, v12
	;; [unrolled: 1-line block ×4, first 2 shown]
	s_and_saveexec_b32 s2, s1
	s_cbranch_execz .LBB16_5
; %bb.18:                               ;   in Loop: Header=BB16_6 Depth=1
	s_waitcnt lgkmcnt(0)
	v_add_f64 v[9:10], v[9:10], v[16:17]
	v_add_f64 v[11:12], v[11:12], v[14:15]
	v_mul_f64 v[14:15], v[9:10], -v[3:4]
	v_mul_f64 v[16:17], v[1:2], v[9:10]
	v_fma_f64 v[9:10], v[1:2], v[11:12], v[14:15]
	v_fma_f64 v[11:12], v[3:4], v[11:12], v[16:17]
	v_add_nc_u32_e32 v14, s6, v13
	v_ashrrev_i32_e32 v15, 31, v14
	s_and_saveexec_b32 s3, s21
	s_xor_b32 s3, exec_lo, s3
	s_cbranch_execz .LBB16_20
; %bb.19:                               ;   in Loop: Header=BB16_6 Depth=1
	v_lshlrev_b64 v[14:15], 4, v[14:15]
	v_add_co_u32 v14, vcc_lo, s8, v14
	v_add_co_ci_u32_e64 v15, null, s9, v15, vcc_lo
	global_store_dwordx4 v[14:15], v[9:12], off
                                        ; implicit-def: $vgpr14
                                        ; implicit-def: $vgpr9_vgpr10
.LBB16_20:                              ;   in Loop: Header=BB16_6 Depth=1
	s_andn2_saveexec_b32 s3, s3
	s_cbranch_execz .LBB16_5
; %bb.21:                               ;   in Loop: Header=BB16_6 Depth=1
	v_lshlrev_b64 v[14:15], 4, v[14:15]
	v_add_co_u32 v21, vcc_lo, s8, v14
	v_add_co_ci_u32_e64 v22, null, s9, v15, vcc_lo
	global_load_dwordx4 v[14:17], v[21:22], off
	s_waitcnt vmcnt(0)
	v_fma_f64 v[9:10], v[5:6], v[14:15], v[9:10]
	v_fma_f64 v[11:12], v[7:8], v[14:15], v[11:12]
	v_fma_f64 v[9:10], -v[7:8], v[16:17], v[9:10]
	v_fma_f64 v[11:12], v[5:6], v[16:17], v[11:12]
	global_store_dwordx4 v[21:22], v[9:12], off
	s_branch .LBB16_5
.LBB16_22:
	s_endpgm
	.section	.rodata,"a",@progbits
	.p2align	6, 0x0
	.amdhsa_kernel _ZN9rocsparseL23gebsrmvn_general_kernelILj128ELj4E21rocsparse_complex_numIdEEEvi20rocsparse_direction_NS_24const_host_device_scalarIT1_EEPKiS8_PKS5_iiSA_S6_PS5_21rocsparse_index_base_b
		.amdhsa_group_segment_fixed_size 0
		.amdhsa_private_segment_fixed_size 0
		.amdhsa_kernarg_size 96
		.amdhsa_user_sgpr_count 6
		.amdhsa_user_sgpr_private_segment_buffer 1
		.amdhsa_user_sgpr_dispatch_ptr 0
		.amdhsa_user_sgpr_queue_ptr 0
		.amdhsa_user_sgpr_kernarg_segment_ptr 1
		.amdhsa_user_sgpr_dispatch_id 0
		.amdhsa_user_sgpr_flat_scratch_init 0
		.amdhsa_user_sgpr_private_segment_size 0
		.amdhsa_wavefront_size32 1
		.amdhsa_uses_dynamic_stack 0
		.amdhsa_system_sgpr_private_segment_wavefront_offset 0
		.amdhsa_system_sgpr_workgroup_id_x 1
		.amdhsa_system_sgpr_workgroup_id_y 0
		.amdhsa_system_sgpr_workgroup_id_z 0
		.amdhsa_system_sgpr_workgroup_info 0
		.amdhsa_system_vgpr_workitem_id 0
		.amdhsa_next_free_vgpr 29
		.amdhsa_next_free_sgpr 28
		.amdhsa_reserve_vcc 1
		.amdhsa_reserve_flat_scratch 0
		.amdhsa_float_round_mode_32 0
		.amdhsa_float_round_mode_16_64 0
		.amdhsa_float_denorm_mode_32 3
		.amdhsa_float_denorm_mode_16_64 3
		.amdhsa_dx10_clamp 1
		.amdhsa_ieee_mode 1
		.amdhsa_fp16_overflow 0
		.amdhsa_workgroup_processor_mode 1
		.amdhsa_memory_ordered 1
		.amdhsa_forward_progress 1
		.amdhsa_shared_vgpr_count 0
		.amdhsa_exception_fp_ieee_invalid_op 0
		.amdhsa_exception_fp_denorm_src 0
		.amdhsa_exception_fp_ieee_div_zero 0
		.amdhsa_exception_fp_ieee_overflow 0
		.amdhsa_exception_fp_ieee_underflow 0
		.amdhsa_exception_fp_ieee_inexact 0
		.amdhsa_exception_int_div_zero 0
	.end_amdhsa_kernel
	.section	.text._ZN9rocsparseL23gebsrmvn_general_kernelILj128ELj4E21rocsparse_complex_numIdEEEvi20rocsparse_direction_NS_24const_host_device_scalarIT1_EEPKiS8_PKS5_iiSA_S6_PS5_21rocsparse_index_base_b,"axG",@progbits,_ZN9rocsparseL23gebsrmvn_general_kernelILj128ELj4E21rocsparse_complex_numIdEEEvi20rocsparse_direction_NS_24const_host_device_scalarIT1_EEPKiS8_PKS5_iiSA_S6_PS5_21rocsparse_index_base_b,comdat
.Lfunc_end16:
	.size	_ZN9rocsparseL23gebsrmvn_general_kernelILj128ELj4E21rocsparse_complex_numIdEEEvi20rocsparse_direction_NS_24const_host_device_scalarIT1_EEPKiS8_PKS5_iiSA_S6_PS5_21rocsparse_index_base_b, .Lfunc_end16-_ZN9rocsparseL23gebsrmvn_general_kernelILj128ELj4E21rocsparse_complex_numIdEEEvi20rocsparse_direction_NS_24const_host_device_scalarIT1_EEPKiS8_PKS5_iiSA_S6_PS5_21rocsparse_index_base_b
                                        ; -- End function
	.set _ZN9rocsparseL23gebsrmvn_general_kernelILj128ELj4E21rocsparse_complex_numIdEEEvi20rocsparse_direction_NS_24const_host_device_scalarIT1_EEPKiS8_PKS5_iiSA_S6_PS5_21rocsparse_index_base_b.num_vgpr, 29
	.set _ZN9rocsparseL23gebsrmvn_general_kernelILj128ELj4E21rocsparse_complex_numIdEEEvi20rocsparse_direction_NS_24const_host_device_scalarIT1_EEPKiS8_PKS5_iiSA_S6_PS5_21rocsparse_index_base_b.num_agpr, 0
	.set _ZN9rocsparseL23gebsrmvn_general_kernelILj128ELj4E21rocsparse_complex_numIdEEEvi20rocsparse_direction_NS_24const_host_device_scalarIT1_EEPKiS8_PKS5_iiSA_S6_PS5_21rocsparse_index_base_b.numbered_sgpr, 28
	.set _ZN9rocsparseL23gebsrmvn_general_kernelILj128ELj4E21rocsparse_complex_numIdEEEvi20rocsparse_direction_NS_24const_host_device_scalarIT1_EEPKiS8_PKS5_iiSA_S6_PS5_21rocsparse_index_base_b.num_named_barrier, 0
	.set _ZN9rocsparseL23gebsrmvn_general_kernelILj128ELj4E21rocsparse_complex_numIdEEEvi20rocsparse_direction_NS_24const_host_device_scalarIT1_EEPKiS8_PKS5_iiSA_S6_PS5_21rocsparse_index_base_b.private_seg_size, 0
	.set _ZN9rocsparseL23gebsrmvn_general_kernelILj128ELj4E21rocsparse_complex_numIdEEEvi20rocsparse_direction_NS_24const_host_device_scalarIT1_EEPKiS8_PKS5_iiSA_S6_PS5_21rocsparse_index_base_b.uses_vcc, 1
	.set _ZN9rocsparseL23gebsrmvn_general_kernelILj128ELj4E21rocsparse_complex_numIdEEEvi20rocsparse_direction_NS_24const_host_device_scalarIT1_EEPKiS8_PKS5_iiSA_S6_PS5_21rocsparse_index_base_b.uses_flat_scratch, 0
	.set _ZN9rocsparseL23gebsrmvn_general_kernelILj128ELj4E21rocsparse_complex_numIdEEEvi20rocsparse_direction_NS_24const_host_device_scalarIT1_EEPKiS8_PKS5_iiSA_S6_PS5_21rocsparse_index_base_b.has_dyn_sized_stack, 0
	.set _ZN9rocsparseL23gebsrmvn_general_kernelILj128ELj4E21rocsparse_complex_numIdEEEvi20rocsparse_direction_NS_24const_host_device_scalarIT1_EEPKiS8_PKS5_iiSA_S6_PS5_21rocsparse_index_base_b.has_recursion, 0
	.set _ZN9rocsparseL23gebsrmvn_general_kernelILj128ELj4E21rocsparse_complex_numIdEEEvi20rocsparse_direction_NS_24const_host_device_scalarIT1_EEPKiS8_PKS5_iiSA_S6_PS5_21rocsparse_index_base_b.has_indirect_call, 0
	.section	.AMDGPU.csdata,"",@progbits
; Kernel info:
; codeLenInByte = 1116
; TotalNumSgprs: 30
; NumVgprs: 29
; ScratchSize: 0
; MemoryBound: 0
; FloatMode: 240
; IeeeMode: 1
; LDSByteSize: 0 bytes/workgroup (compile time only)
; SGPRBlocks: 0
; VGPRBlocks: 3
; NumSGPRsForWavesPerEU: 30
; NumVGPRsForWavesPerEU: 29
; Occupancy: 16
; WaveLimiterHint : 1
; COMPUTE_PGM_RSRC2:SCRATCH_EN: 0
; COMPUTE_PGM_RSRC2:USER_SGPR: 6
; COMPUTE_PGM_RSRC2:TRAP_HANDLER: 0
; COMPUTE_PGM_RSRC2:TGID_X_EN: 1
; COMPUTE_PGM_RSRC2:TGID_Y_EN: 0
; COMPUTE_PGM_RSRC2:TGID_Z_EN: 0
; COMPUTE_PGM_RSRC2:TIDIG_COMP_CNT: 0
	.section	.text._ZN9rocsparseL23gebsrmvn_general_kernelILj256ELj8E21rocsparse_complex_numIdEEEvi20rocsparse_direction_NS_24const_host_device_scalarIT1_EEPKiS8_PKS5_iiSA_S6_PS5_21rocsparse_index_base_b,"axG",@progbits,_ZN9rocsparseL23gebsrmvn_general_kernelILj256ELj8E21rocsparse_complex_numIdEEEvi20rocsparse_direction_NS_24const_host_device_scalarIT1_EEPKiS8_PKS5_iiSA_S6_PS5_21rocsparse_index_base_b,comdat
	.globl	_ZN9rocsparseL23gebsrmvn_general_kernelILj256ELj8E21rocsparse_complex_numIdEEEvi20rocsparse_direction_NS_24const_host_device_scalarIT1_EEPKiS8_PKS5_iiSA_S6_PS5_21rocsparse_index_base_b ; -- Begin function _ZN9rocsparseL23gebsrmvn_general_kernelILj256ELj8E21rocsparse_complex_numIdEEEvi20rocsparse_direction_NS_24const_host_device_scalarIT1_EEPKiS8_PKS5_iiSA_S6_PS5_21rocsparse_index_base_b
	.p2align	8
	.type	_ZN9rocsparseL23gebsrmvn_general_kernelILj256ELj8E21rocsparse_complex_numIdEEEvi20rocsparse_direction_NS_24const_host_device_scalarIT1_EEPKiS8_PKS5_iiSA_S6_PS5_21rocsparse_index_base_b,@function
_ZN9rocsparseL23gebsrmvn_general_kernelILj256ELj8E21rocsparse_complex_numIdEEEvi20rocsparse_direction_NS_24const_host_device_scalarIT1_EEPKiS8_PKS5_iiSA_S6_PS5_21rocsparse_index_base_b: ; @_ZN9rocsparseL23gebsrmvn_general_kernelILj256ELj8E21rocsparse_complex_numIdEEEvi20rocsparse_direction_NS_24const_host_device_scalarIT1_EEPKiS8_PKS5_iiSA_S6_PS5_21rocsparse_index_base_b
; %bb.0:
	s_clause 0x1
	s_load_dwordx2 s[12:13], s[4:5], 0x58
	s_load_dwordx2 s[0:1], s[4:5], 0x8
	s_add_u32 s7, s4, 8
	s_addc_u32 s8, s5, 0
	s_add_u32 s9, s4, 64
	s_addc_u32 s10, s5, 0
	s_load_dwordx2 s[2:3], s[4:5], 0x40
	s_waitcnt lgkmcnt(0)
	s_bitcmp1_b32 s13, 0
	s_cselect_b32 s0, s7, s0
	s_cselect_b32 s1, s8, s1
	v_mov_b32_e32 v1, s0
	v_mov_b32_e32 v2, s1
	s_cselect_b32 s0, s9, s2
	s_cselect_b32 s1, s10, s3
	v_mov_b32_e32 v5, s0
	v_mov_b32_e32 v6, s1
	flat_load_dwordx4 v[1:4], v[1:2]
	flat_load_dwordx4 v[5:8], v[5:6]
	s_waitcnt vmcnt(1) lgkmcnt(1)
	v_cmp_eq_f64_e32 vcc_lo, 0, v[1:2]
	v_cmp_eq_f64_e64 s0, 0, v[3:4]
	s_and_b32 s2, vcc_lo, s0
	s_mov_b32 s0, -1
	s_and_saveexec_b32 s1, s2
	s_cbranch_execz .LBB17_2
; %bb.1:
	s_waitcnt vmcnt(0) lgkmcnt(0)
	v_cmp_neq_f64_e32 vcc_lo, 1.0, v[5:6]
	v_cmp_neq_f64_e64 s0, 0, v[7:8]
	s_or_b32 s0, vcc_lo, s0
	s_orn2_b32 s0, s0, exec_lo
.LBB17_2:
	s_or_b32 exec_lo, exec_lo, s1
	s_and_saveexec_b32 s1, s0
	s_cbranch_execz .LBB17_22
; %bb.3:
	s_load_dwordx2 s[14:15], s[4:5], 0x30
	v_lshrrev_b32_e32 v13, 3, v0
	s_waitcnt lgkmcnt(0)
	v_cmp_gt_i32_e32 vcc_lo, s14, v13
	s_and_b32 exec_lo, exec_lo, vcc_lo
	s_cbranch_execz .LBB17_22
; %bb.4:
	s_clause 0x1
	s_load_dwordx4 s[8:11], s[4:5], 0x18
	s_load_dword s3, s[4:5], 0x4
	s_ashr_i32 s7, s6, 31
	v_mbcnt_lo_u32_b32 v11, -1, 0
	s_lshl_b64 s[0:1], s[6:7], 2
	s_waitcnt vmcnt(0)
	v_cmp_eq_f64_e32 vcc_lo, 0, v[5:6]
	v_cmp_eq_f64_e64 s2, 0, v[7:8]
	v_and_b32_e32 v0, 7, v0
	v_xor_b32_e32 v9, 4, v11
	v_xor_b32_e32 v10, 2, v11
	;; [unrolled: 1-line block ×3, first 2 shown]
	s_mul_i32 s6, s14, s6
	s_mul_i32 s23, s15, s14
	s_waitcnt lgkmcnt(0)
	s_add_u32 s0, s8, s0
	s_addc_u32 s1, s9, s1
	s_load_dwordx2 s[18:19], s[0:1], 0x0
	v_cmp_gt_i32_e64 s1, 32, v9
	s_clause 0x2
	s_load_dwordx2 s[8:9], s[4:5], 0x50
	s_load_dwordx2 s[16:17], s[4:5], 0x28
	;; [unrolled: 1-line block ×3, first 2 shown]
	v_cmp_gt_i32_e64 s0, s15, v0
	v_cndmask_b32_e64 v14, v11, v9, s1
	v_cmp_gt_i32_e64 s1, 32, v10
	v_lshlrev_b32_e32 v18, 2, v14
	v_cndmask_b32_e64 v15, v11, v10, s1
	v_cmp_gt_i32_e64 s1, 32, v12
	v_lshlrev_b32_e32 v19, 2, v15
	s_waitcnt lgkmcnt(0)
	s_sub_i32 s7, s18, s12
	s_sub_i32 s13, s19, s12
	v_mad_u64_u32 v[9:10], null, s14, s7, v[13:14]
	v_cndmask_b32_e64 v10, v11, v12, s1
	s_cmp_lt_i32 s18, s19
	v_cmp_eq_u32_e64 s1, 7, v0
	s_cselect_b32 s18, -1, 0
	s_cmp_lg_u32 s3, 0
	v_lshlrev_b32_e32 v20, 2, v10
	v_mul_lo_u32 v21, s15, v9
	s_mov_b32 s19, 0
	s_cselect_b32 s20, -1, 0
	s_and_b32 s21, vcc_lo, s2
	s_lshl_b32 s22, s15, 5
	s_branch .LBB17_6
.LBB17_5:                               ;   in Loop: Header=BB17_6 Depth=1
	s_or_b32 exec_lo, exec_lo, s2
	v_add_nc_u32_e32 v13, 32, v13
	v_add_nc_u32_e32 v21, s22, v21
	v_cmp_le_i32_e32 vcc_lo, s14, v13
	s_or_b32 s19, vcc_lo, s19
	s_andn2_b32 exec_lo, exec_lo, s19
	s_cbranch_execz .LBB17_22
.LBB17_6:                               ; =>This Loop Header: Depth=1
                                        ;     Child Loop BB17_10 Depth 2
                                        ;       Child Loop BB17_13 Depth 3
	v_mov_b32_e32 v9, 0
	v_mov_b32_e32 v11, 0
	;; [unrolled: 1-line block ×4, first 2 shown]
	s_andn2_b32 vcc_lo, exec_lo, s18
	s_cbranch_vccnz .LBB17_17
; %bb.7:                                ;   in Loop: Header=BB17_6 Depth=1
	v_mov_b32_e32 v9, 0
	v_mov_b32_e32 v11, 0
	;; [unrolled: 1-line block ×4, first 2 shown]
	s_waitcnt lgkmcnt(1)
	v_mov_b32_e32 v16, v21
	s_mov_b32 s2, s7
	s_branch .LBB17_10
.LBB17_8:                               ;   in Loop: Header=BB17_10 Depth=2
	s_inst_prefetch 0x2
	s_or_b32 exec_lo, exec_lo, s25
.LBB17_9:                               ;   in Loop: Header=BB17_10 Depth=2
	s_or_b32 exec_lo, exec_lo, s24
	v_add_nc_u32_e32 v16, s23, v16
	s_add_i32 s2, s2, 1
	s_cmp_ge_i32 s2, s13
	s_cbranch_scc1 .LBB17_17
.LBB17_10:                              ;   Parent Loop BB17_6 Depth=1
                                        ; =>  This Loop Header: Depth=2
                                        ;       Child Loop BB17_13 Depth 3
	s_and_saveexec_b32 s24, s0
	s_cbranch_execz .LBB17_9
; %bb.11:                               ;   in Loop: Header=BB17_10 Depth=2
	s_ashr_i32 s3, s2, 31
	s_waitcnt lgkmcnt(0)
	v_mov_b32_e32 v17, v0
	s_lshl_b64 s[26:27], s[2:3], 2
	s_mov_b32 s25, 0
	s_add_u32 s26, s10, s26
	s_addc_u32 s27, s11, s27
	s_load_dword s3, s[26:27], 0x0
	s_waitcnt lgkmcnt(0)
	s_sub_i32 s26, s3, s12
	s_mul_i32 s3, s2, s15
	s_mul_i32 s26, s26, s15
	s_inst_prefetch 0x1
	s_branch .LBB17_13
	.p2align	6
.LBB17_12:                              ;   in Loop: Header=BB17_13 Depth=3
	v_add_nc_u32_e32 v22, s26, v17
	v_ashrrev_i32_e32 v15, 31, v14
	v_add_nc_u32_e32 v17, 8, v17
	v_ashrrev_i32_e32 v23, 31, v22
	v_lshlrev_b64 v[14:15], 4, v[14:15]
	v_lshlrev_b64 v[22:23], 4, v[22:23]
	v_add_co_u32 v14, vcc_lo, s16, v14
	v_add_co_ci_u32_e64 v15, null, s17, v15, vcc_lo
	v_add_co_u32 v26, vcc_lo, s4, v22
	v_add_co_ci_u32_e64 v27, null, s5, v23, vcc_lo
	v_cmp_le_i32_e32 vcc_lo, s15, v17
	global_load_dwordx4 v[22:25], v[14:15], off
	global_load_dwordx4 v[26:29], v[26:27], off
	s_or_b32 s25, vcc_lo, s25
	s_waitcnt vmcnt(0)
	v_fma_f64 v[11:12], v[22:23], v[26:27], v[11:12]
	v_fma_f64 v[9:10], v[24:25], v[26:27], v[9:10]
	v_fma_f64 v[11:12], -v[24:25], v[28:29], v[11:12]
	v_fma_f64 v[9:10], v[22:23], v[28:29], v[9:10]
	s_andn2_b32 exec_lo, exec_lo, s25
	s_cbranch_execz .LBB17_8
.LBB17_13:                              ;   Parent Loop BB17_6 Depth=1
                                        ;     Parent Loop BB17_10 Depth=2
                                        ; =>    This Inner Loop Header: Depth=3
	s_and_b32 vcc_lo, exec_lo, s20
	s_cbranch_vccz .LBB17_15
; %bb.14:                               ;   in Loop: Header=BB17_13 Depth=3
	v_add_nc_u32_e32 v14, s3, v17
	v_mad_u64_u32 v[14:15], null, v14, s14, v[13:14]
	s_cbranch_execnz .LBB17_12
	s_branch .LBB17_16
.LBB17_15:                              ;   in Loop: Header=BB17_13 Depth=3
                                        ; implicit-def: $vgpr14
.LBB17_16:                              ;   in Loop: Header=BB17_13 Depth=3
	v_add_nc_u32_e32 v14, v16, v17
	s_branch .LBB17_12
.LBB17_17:                              ;   in Loop: Header=BB17_6 Depth=1
	s_waitcnt lgkmcnt(3)
	ds_bpermute_b32 v14, v18, v11
	s_waitcnt lgkmcnt(3)
	ds_bpermute_b32 v15, v18, v12
	;; [unrolled: 2-line block ×4, first 2 shown]
	s_waitcnt lgkmcnt(2)
	v_add_f64 v[11:12], v[11:12], v[14:15]
	s_waitcnt lgkmcnt(0)
	v_add_f64 v[14:15], v[9:10], v[16:17]
	ds_bpermute_b32 v9, v19, v11
	ds_bpermute_b32 v10, v19, v12
	;; [unrolled: 1-line block ×4, first 2 shown]
	s_waitcnt lgkmcnt(2)
	v_add_f64 v[9:10], v[11:12], v[9:10]
	s_waitcnt lgkmcnt(0)
	v_add_f64 v[11:12], v[14:15], v[16:17]
	ds_bpermute_b32 v14, v20, v9
	ds_bpermute_b32 v15, v20, v10
	;; [unrolled: 1-line block ×4, first 2 shown]
	s_and_saveexec_b32 s2, s1
	s_cbranch_execz .LBB17_5
; %bb.18:                               ;   in Loop: Header=BB17_6 Depth=1
	s_waitcnt lgkmcnt(0)
	v_add_f64 v[11:12], v[11:12], v[16:17]
	v_add_f64 v[14:15], v[9:10], v[14:15]
	v_mul_f64 v[9:10], v[11:12], -v[3:4]
	v_mul_f64 v[11:12], v[1:2], v[11:12]
	v_fma_f64 v[9:10], v[1:2], v[14:15], v[9:10]
	v_fma_f64 v[11:12], v[3:4], v[14:15], v[11:12]
	v_add_nc_u32_e32 v14, s6, v13
	v_ashrrev_i32_e32 v15, 31, v14
	s_and_saveexec_b32 s3, s21
	s_xor_b32 s3, exec_lo, s3
	s_cbranch_execz .LBB17_20
; %bb.19:                               ;   in Loop: Header=BB17_6 Depth=1
	v_lshlrev_b64 v[14:15], 4, v[14:15]
	v_add_co_u32 v14, vcc_lo, s8, v14
	v_add_co_ci_u32_e64 v15, null, s9, v15, vcc_lo
	global_store_dwordx4 v[14:15], v[9:12], off
                                        ; implicit-def: $vgpr14
                                        ; implicit-def: $vgpr9_vgpr10
.LBB17_20:                              ;   in Loop: Header=BB17_6 Depth=1
	s_andn2_saveexec_b32 s3, s3
	s_cbranch_execz .LBB17_5
; %bb.21:                               ;   in Loop: Header=BB17_6 Depth=1
	v_lshlrev_b64 v[14:15], 4, v[14:15]
	v_add_co_u32 v22, vcc_lo, s8, v14
	v_add_co_ci_u32_e64 v23, null, s9, v15, vcc_lo
	global_load_dwordx4 v[14:17], v[22:23], off
	s_waitcnt vmcnt(0)
	v_fma_f64 v[9:10], v[5:6], v[14:15], v[9:10]
	v_fma_f64 v[11:12], v[7:8], v[14:15], v[11:12]
	v_fma_f64 v[9:10], -v[7:8], v[16:17], v[9:10]
	v_fma_f64 v[11:12], v[5:6], v[16:17], v[11:12]
	global_store_dwordx4 v[22:23], v[9:12], off
	s_branch .LBB17_5
.LBB17_22:
	s_endpgm
	.section	.rodata,"a",@progbits
	.p2align	6, 0x0
	.amdhsa_kernel _ZN9rocsparseL23gebsrmvn_general_kernelILj256ELj8E21rocsparse_complex_numIdEEEvi20rocsparse_direction_NS_24const_host_device_scalarIT1_EEPKiS8_PKS5_iiSA_S6_PS5_21rocsparse_index_base_b
		.amdhsa_group_segment_fixed_size 0
		.amdhsa_private_segment_fixed_size 0
		.amdhsa_kernarg_size 96
		.amdhsa_user_sgpr_count 6
		.amdhsa_user_sgpr_private_segment_buffer 1
		.amdhsa_user_sgpr_dispatch_ptr 0
		.amdhsa_user_sgpr_queue_ptr 0
		.amdhsa_user_sgpr_kernarg_segment_ptr 1
		.amdhsa_user_sgpr_dispatch_id 0
		.amdhsa_user_sgpr_flat_scratch_init 0
		.amdhsa_user_sgpr_private_segment_size 0
		.amdhsa_wavefront_size32 1
		.amdhsa_uses_dynamic_stack 0
		.amdhsa_system_sgpr_private_segment_wavefront_offset 0
		.amdhsa_system_sgpr_workgroup_id_x 1
		.amdhsa_system_sgpr_workgroup_id_y 0
		.amdhsa_system_sgpr_workgroup_id_z 0
		.amdhsa_system_sgpr_workgroup_info 0
		.amdhsa_system_vgpr_workitem_id 0
		.amdhsa_next_free_vgpr 30
		.amdhsa_next_free_sgpr 28
		.amdhsa_reserve_vcc 1
		.amdhsa_reserve_flat_scratch 0
		.amdhsa_float_round_mode_32 0
		.amdhsa_float_round_mode_16_64 0
		.amdhsa_float_denorm_mode_32 3
		.amdhsa_float_denorm_mode_16_64 3
		.amdhsa_dx10_clamp 1
		.amdhsa_ieee_mode 1
		.amdhsa_fp16_overflow 0
		.amdhsa_workgroup_processor_mode 1
		.amdhsa_memory_ordered 1
		.amdhsa_forward_progress 1
		.amdhsa_shared_vgpr_count 0
		.amdhsa_exception_fp_ieee_invalid_op 0
		.amdhsa_exception_fp_denorm_src 0
		.amdhsa_exception_fp_ieee_div_zero 0
		.amdhsa_exception_fp_ieee_overflow 0
		.amdhsa_exception_fp_ieee_underflow 0
		.amdhsa_exception_fp_ieee_inexact 0
		.amdhsa_exception_int_div_zero 0
	.end_amdhsa_kernel
	.section	.text._ZN9rocsparseL23gebsrmvn_general_kernelILj256ELj8E21rocsparse_complex_numIdEEEvi20rocsparse_direction_NS_24const_host_device_scalarIT1_EEPKiS8_PKS5_iiSA_S6_PS5_21rocsparse_index_base_b,"axG",@progbits,_ZN9rocsparseL23gebsrmvn_general_kernelILj256ELj8E21rocsparse_complex_numIdEEEvi20rocsparse_direction_NS_24const_host_device_scalarIT1_EEPKiS8_PKS5_iiSA_S6_PS5_21rocsparse_index_base_b,comdat
.Lfunc_end17:
	.size	_ZN9rocsparseL23gebsrmvn_general_kernelILj256ELj8E21rocsparse_complex_numIdEEEvi20rocsparse_direction_NS_24const_host_device_scalarIT1_EEPKiS8_PKS5_iiSA_S6_PS5_21rocsparse_index_base_b, .Lfunc_end17-_ZN9rocsparseL23gebsrmvn_general_kernelILj256ELj8E21rocsparse_complex_numIdEEEvi20rocsparse_direction_NS_24const_host_device_scalarIT1_EEPKiS8_PKS5_iiSA_S6_PS5_21rocsparse_index_base_b
                                        ; -- End function
	.set _ZN9rocsparseL23gebsrmvn_general_kernelILj256ELj8E21rocsparse_complex_numIdEEEvi20rocsparse_direction_NS_24const_host_device_scalarIT1_EEPKiS8_PKS5_iiSA_S6_PS5_21rocsparse_index_base_b.num_vgpr, 30
	.set _ZN9rocsparseL23gebsrmvn_general_kernelILj256ELj8E21rocsparse_complex_numIdEEEvi20rocsparse_direction_NS_24const_host_device_scalarIT1_EEPKiS8_PKS5_iiSA_S6_PS5_21rocsparse_index_base_b.num_agpr, 0
	.set _ZN9rocsparseL23gebsrmvn_general_kernelILj256ELj8E21rocsparse_complex_numIdEEEvi20rocsparse_direction_NS_24const_host_device_scalarIT1_EEPKiS8_PKS5_iiSA_S6_PS5_21rocsparse_index_base_b.numbered_sgpr, 28
	.set _ZN9rocsparseL23gebsrmvn_general_kernelILj256ELj8E21rocsparse_complex_numIdEEEvi20rocsparse_direction_NS_24const_host_device_scalarIT1_EEPKiS8_PKS5_iiSA_S6_PS5_21rocsparse_index_base_b.num_named_barrier, 0
	.set _ZN9rocsparseL23gebsrmvn_general_kernelILj256ELj8E21rocsparse_complex_numIdEEEvi20rocsparse_direction_NS_24const_host_device_scalarIT1_EEPKiS8_PKS5_iiSA_S6_PS5_21rocsparse_index_base_b.private_seg_size, 0
	.set _ZN9rocsparseL23gebsrmvn_general_kernelILj256ELj8E21rocsparse_complex_numIdEEEvi20rocsparse_direction_NS_24const_host_device_scalarIT1_EEPKiS8_PKS5_iiSA_S6_PS5_21rocsparse_index_base_b.uses_vcc, 1
	.set _ZN9rocsparseL23gebsrmvn_general_kernelILj256ELj8E21rocsparse_complex_numIdEEEvi20rocsparse_direction_NS_24const_host_device_scalarIT1_EEPKiS8_PKS5_iiSA_S6_PS5_21rocsparse_index_base_b.uses_flat_scratch, 0
	.set _ZN9rocsparseL23gebsrmvn_general_kernelILj256ELj8E21rocsparse_complex_numIdEEEvi20rocsparse_direction_NS_24const_host_device_scalarIT1_EEPKiS8_PKS5_iiSA_S6_PS5_21rocsparse_index_base_b.has_dyn_sized_stack, 0
	.set _ZN9rocsparseL23gebsrmvn_general_kernelILj256ELj8E21rocsparse_complex_numIdEEEvi20rocsparse_direction_NS_24const_host_device_scalarIT1_EEPKiS8_PKS5_iiSA_S6_PS5_21rocsparse_index_base_b.has_recursion, 0
	.set _ZN9rocsparseL23gebsrmvn_general_kernelILj256ELj8E21rocsparse_complex_numIdEEEvi20rocsparse_direction_NS_24const_host_device_scalarIT1_EEPKiS8_PKS5_iiSA_S6_PS5_21rocsparse_index_base_b.has_indirect_call, 0
	.section	.AMDGPU.csdata,"",@progbits
; Kernel info:
; codeLenInByte = 1172
; TotalNumSgprs: 30
; NumVgprs: 30
; ScratchSize: 0
; MemoryBound: 0
; FloatMode: 240
; IeeeMode: 1
; LDSByteSize: 0 bytes/workgroup (compile time only)
; SGPRBlocks: 0
; VGPRBlocks: 3
; NumSGPRsForWavesPerEU: 30
; NumVGPRsForWavesPerEU: 30
; Occupancy: 16
; WaveLimiterHint : 1
; COMPUTE_PGM_RSRC2:SCRATCH_EN: 0
; COMPUTE_PGM_RSRC2:USER_SGPR: 6
; COMPUTE_PGM_RSRC2:TRAP_HANDLER: 0
; COMPUTE_PGM_RSRC2:TGID_X_EN: 1
; COMPUTE_PGM_RSRC2:TGID_Y_EN: 0
; COMPUTE_PGM_RSRC2:TGID_Z_EN: 0
; COMPUTE_PGM_RSRC2:TIDIG_COMP_CNT: 0
	.section	.text._ZN9rocsparseL23gebsrmvn_general_kernelILj512ELj16E21rocsparse_complex_numIdEEEvi20rocsparse_direction_NS_24const_host_device_scalarIT1_EEPKiS8_PKS5_iiSA_S6_PS5_21rocsparse_index_base_b,"axG",@progbits,_ZN9rocsparseL23gebsrmvn_general_kernelILj512ELj16E21rocsparse_complex_numIdEEEvi20rocsparse_direction_NS_24const_host_device_scalarIT1_EEPKiS8_PKS5_iiSA_S6_PS5_21rocsparse_index_base_b,comdat
	.globl	_ZN9rocsparseL23gebsrmvn_general_kernelILj512ELj16E21rocsparse_complex_numIdEEEvi20rocsparse_direction_NS_24const_host_device_scalarIT1_EEPKiS8_PKS5_iiSA_S6_PS5_21rocsparse_index_base_b ; -- Begin function _ZN9rocsparseL23gebsrmvn_general_kernelILj512ELj16E21rocsparse_complex_numIdEEEvi20rocsparse_direction_NS_24const_host_device_scalarIT1_EEPKiS8_PKS5_iiSA_S6_PS5_21rocsparse_index_base_b
	.p2align	8
	.type	_ZN9rocsparseL23gebsrmvn_general_kernelILj512ELj16E21rocsparse_complex_numIdEEEvi20rocsparse_direction_NS_24const_host_device_scalarIT1_EEPKiS8_PKS5_iiSA_S6_PS5_21rocsparse_index_base_b,@function
_ZN9rocsparseL23gebsrmvn_general_kernelILj512ELj16E21rocsparse_complex_numIdEEEvi20rocsparse_direction_NS_24const_host_device_scalarIT1_EEPKiS8_PKS5_iiSA_S6_PS5_21rocsparse_index_base_b: ; @_ZN9rocsparseL23gebsrmvn_general_kernelILj512ELj16E21rocsparse_complex_numIdEEEvi20rocsparse_direction_NS_24const_host_device_scalarIT1_EEPKiS8_PKS5_iiSA_S6_PS5_21rocsparse_index_base_b
; %bb.0:
	s_clause 0x1
	s_load_dwordx2 s[12:13], s[4:5], 0x58
	s_load_dwordx2 s[0:1], s[4:5], 0x8
	s_add_u32 s7, s4, 8
	s_addc_u32 s8, s5, 0
	s_add_u32 s9, s4, 64
	s_addc_u32 s10, s5, 0
	s_load_dwordx2 s[2:3], s[4:5], 0x40
	s_waitcnt lgkmcnt(0)
	s_bitcmp1_b32 s13, 0
	s_cselect_b32 s0, s7, s0
	s_cselect_b32 s1, s8, s1
	v_mov_b32_e32 v1, s0
	v_mov_b32_e32 v2, s1
	s_cselect_b32 s0, s9, s2
	s_cselect_b32 s1, s10, s3
	v_mov_b32_e32 v5, s0
	v_mov_b32_e32 v6, s1
	flat_load_dwordx4 v[1:4], v[1:2]
	flat_load_dwordx4 v[5:8], v[5:6]
	s_waitcnt vmcnt(1) lgkmcnt(1)
	v_cmp_eq_f64_e32 vcc_lo, 0, v[1:2]
	v_cmp_eq_f64_e64 s0, 0, v[3:4]
	s_and_b32 s2, vcc_lo, s0
	s_mov_b32 s0, -1
	s_and_saveexec_b32 s1, s2
	s_cbranch_execz .LBB18_2
; %bb.1:
	s_waitcnt vmcnt(0) lgkmcnt(0)
	v_cmp_neq_f64_e32 vcc_lo, 1.0, v[5:6]
	v_cmp_neq_f64_e64 s0, 0, v[7:8]
	s_or_b32 s0, vcc_lo, s0
	s_orn2_b32 s0, s0, exec_lo
.LBB18_2:
	s_or_b32 exec_lo, exec_lo, s1
	s_and_saveexec_b32 s1, s0
	s_cbranch_execz .LBB18_22
; %bb.3:
	s_load_dwordx2 s[14:15], s[4:5], 0x30
	v_lshrrev_b32_e32 v13, 4, v0
	s_waitcnt lgkmcnt(0)
	v_cmp_gt_i32_e32 vcc_lo, s14, v13
	s_and_b32 exec_lo, exec_lo, vcc_lo
	s_cbranch_execz .LBB18_22
; %bb.4:
	s_clause 0x1
	s_load_dwordx4 s[8:11], s[4:5], 0x18
	s_load_dword s3, s[4:5], 0x4
	s_ashr_i32 s7, s6, 31
	v_mbcnt_lo_u32_b32 v11, -1, 0
	s_lshl_b64 s[0:1], s[6:7], 2
	s_waitcnt vmcnt(0)
	v_cmp_eq_f64_e32 vcc_lo, 0, v[5:6]
	v_cmp_eq_f64_e64 s2, 0, v[7:8]
	v_and_b32_e32 v0, 15, v0
	v_xor_b32_e32 v9, 8, v11
	v_xor_b32_e32 v10, 4, v11
	;; [unrolled: 1-line block ×4, first 2 shown]
	s_mov_b32 s7, 0
	s_mul_i32 s6, s14, s6
	s_mul_i32 s23, s15, s14
	s_waitcnt lgkmcnt(0)
	s_add_u32 s0, s8, s0
	s_addc_u32 s1, s9, s1
	s_load_dwordx2 s[20:21], s[0:1], 0x0
	s_clause 0x2
	s_load_dwordx2 s[8:9], s[4:5], 0x50
	s_load_dwordx2 s[16:17], s[4:5], 0x28
	;; [unrolled: 1-line block ×3, first 2 shown]
	v_cmp_gt_i32_e64 s1, 32, v9
	v_cmp_gt_i32_e64 s0, s15, v0
	v_cndmask_b32_e64 v15, v11, v9, s1
	v_cmp_gt_i32_e64 s1, 32, v10
	v_lshlrev_b32_e32 v18, 2, v15
	v_cndmask_b32_e64 v16, v11, v10, s1
	v_cmp_gt_i32_e64 s1, 32, v12
	v_lshlrev_b32_e32 v19, 2, v16
	s_waitcnt lgkmcnt(0)
	s_sub_i32 s13, s20, s12
	v_cndmask_b32_e64 v12, v11, v12, s1
	v_mad_u64_u32 v[9:10], null, s14, s13, v[13:14]
	v_cmp_gt_i32_e64 s1, 32, v14
	s_sub_i32 s18, s21, s12
	s_cmp_lt_i32 s20, s21
	v_lshlrev_b32_e32 v20, 2, v12
	s_cselect_b32 s19, -1, 0
	v_cndmask_b32_e64 v10, v11, v14, s1
	v_mul_lo_u32 v22, s15, v9
	v_cmp_eq_u32_e64 s1, 15, v0
	s_cmp_lg_u32 s3, 0
	v_lshlrev_b32_e32 v21, 2, v10
	s_cselect_b32 s20, -1, 0
	s_and_b32 s21, vcc_lo, s2
	s_lshl_b32 s22, s15, 5
	s_branch .LBB18_6
.LBB18_5:                               ;   in Loop: Header=BB18_6 Depth=1
	s_or_b32 exec_lo, exec_lo, s2
	v_add_nc_u32_e32 v13, 32, v13
	v_add_nc_u32_e32 v22, s22, v22
	v_cmp_le_i32_e32 vcc_lo, s14, v13
	s_or_b32 s7, vcc_lo, s7
	s_andn2_b32 exec_lo, exec_lo, s7
	s_cbranch_execz .LBB18_22
.LBB18_6:                               ; =>This Loop Header: Depth=1
                                        ;     Child Loop BB18_10 Depth 2
                                        ;       Child Loop BB18_13 Depth 3
	v_mov_b32_e32 v9, 0
	v_mov_b32_e32 v11, 0
	;; [unrolled: 1-line block ×4, first 2 shown]
	s_andn2_b32 vcc_lo, exec_lo, s19
	s_cbranch_vccnz .LBB18_17
; %bb.7:                                ;   in Loop: Header=BB18_6 Depth=1
	v_mov_b32_e32 v9, 0
	v_mov_b32_e32 v11, 0
	;; [unrolled: 1-line block ×4, first 2 shown]
	s_waitcnt lgkmcnt(1)
	v_mov_b32_e32 v16, v22
	s_mov_b32 s2, s13
	s_branch .LBB18_10
.LBB18_8:                               ;   in Loop: Header=BB18_10 Depth=2
	s_inst_prefetch 0x2
	s_or_b32 exec_lo, exec_lo, s25
.LBB18_9:                               ;   in Loop: Header=BB18_10 Depth=2
	s_or_b32 exec_lo, exec_lo, s24
	v_add_nc_u32_e32 v16, s23, v16
	s_add_i32 s2, s2, 1
	s_cmp_ge_i32 s2, s18
	s_cbranch_scc1 .LBB18_17
.LBB18_10:                              ;   Parent Loop BB18_6 Depth=1
                                        ; =>  This Loop Header: Depth=2
                                        ;       Child Loop BB18_13 Depth 3
	s_and_saveexec_b32 s24, s0
	s_cbranch_execz .LBB18_9
; %bb.11:                               ;   in Loop: Header=BB18_10 Depth=2
	s_ashr_i32 s3, s2, 31
	s_waitcnt lgkmcnt(0)
	v_mov_b32_e32 v17, v0
	s_lshl_b64 s[26:27], s[2:3], 2
	s_mov_b32 s25, 0
	s_add_u32 s26, s10, s26
	s_addc_u32 s27, s11, s27
	s_load_dword s3, s[26:27], 0x0
	s_waitcnt lgkmcnt(0)
	s_sub_i32 s26, s3, s12
	s_mul_i32 s3, s2, s15
	s_mul_i32 s26, s26, s15
	s_inst_prefetch 0x1
	s_branch .LBB18_13
	.p2align	6
.LBB18_12:                              ;   in Loop: Header=BB18_13 Depth=3
	v_add_nc_u32_e32 v23, s26, v17
	v_ashrrev_i32_e32 v15, 31, v14
	v_add_nc_u32_e32 v17, 16, v17
	v_ashrrev_i32_e32 v24, 31, v23
	v_lshlrev_b64 v[14:15], 4, v[14:15]
	v_lshlrev_b64 v[23:24], 4, v[23:24]
	v_add_co_u32 v14, vcc_lo, s16, v14
	v_add_co_ci_u32_e64 v15, null, s17, v15, vcc_lo
	v_add_co_u32 v27, vcc_lo, s4, v23
	v_add_co_ci_u32_e64 v28, null, s5, v24, vcc_lo
	v_cmp_le_i32_e32 vcc_lo, s15, v17
	global_load_dwordx4 v[23:26], v[14:15], off
	global_load_dwordx4 v[27:30], v[27:28], off
	s_or_b32 s25, vcc_lo, s25
	s_waitcnt vmcnt(0)
	v_fma_f64 v[11:12], v[23:24], v[27:28], v[11:12]
	v_fma_f64 v[9:10], v[25:26], v[27:28], v[9:10]
	v_fma_f64 v[11:12], -v[25:26], v[29:30], v[11:12]
	v_fma_f64 v[9:10], v[23:24], v[29:30], v[9:10]
	s_andn2_b32 exec_lo, exec_lo, s25
	s_cbranch_execz .LBB18_8
.LBB18_13:                              ;   Parent Loop BB18_6 Depth=1
                                        ;     Parent Loop BB18_10 Depth=2
                                        ; =>    This Inner Loop Header: Depth=3
	s_and_b32 vcc_lo, exec_lo, s20
	s_cbranch_vccz .LBB18_15
; %bb.14:                               ;   in Loop: Header=BB18_13 Depth=3
	v_add_nc_u32_e32 v14, s3, v17
	v_mad_u64_u32 v[14:15], null, v14, s14, v[13:14]
	s_cbranch_execnz .LBB18_12
	s_branch .LBB18_16
.LBB18_15:                              ;   in Loop: Header=BB18_13 Depth=3
                                        ; implicit-def: $vgpr14
.LBB18_16:                              ;   in Loop: Header=BB18_13 Depth=3
	v_add_nc_u32_e32 v14, v16, v17
	s_branch .LBB18_12
.LBB18_17:                              ;   in Loop: Header=BB18_6 Depth=1
	s_waitcnt lgkmcnt(3)
	ds_bpermute_b32 v14, v18, v11
	s_waitcnt lgkmcnt(3)
	ds_bpermute_b32 v15, v18, v12
	;; [unrolled: 2-line block ×4, first 2 shown]
	s_waitcnt lgkmcnt(2)
	v_add_f64 v[11:12], v[11:12], v[14:15]
	s_waitcnt lgkmcnt(0)
	v_add_f64 v[9:10], v[9:10], v[16:17]
	ds_bpermute_b32 v14, v19, v11
	ds_bpermute_b32 v15, v19, v12
	ds_bpermute_b32 v16, v19, v9
	ds_bpermute_b32 v17, v19, v10
	s_waitcnt lgkmcnt(2)
	v_add_f64 v[11:12], v[11:12], v[14:15]
	s_waitcnt lgkmcnt(0)
	v_add_f64 v[14:15], v[9:10], v[16:17]
	ds_bpermute_b32 v9, v20, v11
	ds_bpermute_b32 v10, v20, v12
	ds_bpermute_b32 v16, v20, v14
	ds_bpermute_b32 v17, v20, v15
	;; [unrolled: 8-line block ×3, first 2 shown]
	s_and_saveexec_b32 s2, s1
	s_cbranch_execz .LBB18_5
; %bb.18:                               ;   in Loop: Header=BB18_6 Depth=1
	s_waitcnt lgkmcnt(0)
	v_add_f64 v[11:12], v[11:12], v[16:17]
	v_add_f64 v[14:15], v[9:10], v[14:15]
	v_mul_f64 v[9:10], v[11:12], -v[3:4]
	v_mul_f64 v[11:12], v[1:2], v[11:12]
	v_fma_f64 v[9:10], v[1:2], v[14:15], v[9:10]
	v_fma_f64 v[11:12], v[3:4], v[14:15], v[11:12]
	v_add_nc_u32_e32 v14, s6, v13
	v_ashrrev_i32_e32 v15, 31, v14
	s_and_saveexec_b32 s3, s21
	s_xor_b32 s3, exec_lo, s3
	s_cbranch_execz .LBB18_20
; %bb.19:                               ;   in Loop: Header=BB18_6 Depth=1
	v_lshlrev_b64 v[14:15], 4, v[14:15]
	v_add_co_u32 v14, vcc_lo, s8, v14
	v_add_co_ci_u32_e64 v15, null, s9, v15, vcc_lo
	global_store_dwordx4 v[14:15], v[9:12], off
                                        ; implicit-def: $vgpr14
                                        ; implicit-def: $vgpr9_vgpr10
.LBB18_20:                              ;   in Loop: Header=BB18_6 Depth=1
	s_andn2_saveexec_b32 s3, s3
	s_cbranch_execz .LBB18_5
; %bb.21:                               ;   in Loop: Header=BB18_6 Depth=1
	v_lshlrev_b64 v[14:15], 4, v[14:15]
	v_add_co_u32 v23, vcc_lo, s8, v14
	v_add_co_ci_u32_e64 v24, null, s9, v15, vcc_lo
	global_load_dwordx4 v[14:17], v[23:24], off
	s_waitcnt vmcnt(0)
	v_fma_f64 v[9:10], v[5:6], v[14:15], v[9:10]
	v_fma_f64 v[11:12], v[7:8], v[14:15], v[11:12]
	v_fma_f64 v[9:10], -v[7:8], v[16:17], v[9:10]
	v_fma_f64 v[11:12], v[5:6], v[16:17], v[11:12]
	global_store_dwordx4 v[23:24], v[9:12], off
	s_branch .LBB18_5
.LBB18_22:
	s_endpgm
	.section	.rodata,"a",@progbits
	.p2align	6, 0x0
	.amdhsa_kernel _ZN9rocsparseL23gebsrmvn_general_kernelILj512ELj16E21rocsparse_complex_numIdEEEvi20rocsparse_direction_NS_24const_host_device_scalarIT1_EEPKiS8_PKS5_iiSA_S6_PS5_21rocsparse_index_base_b
		.amdhsa_group_segment_fixed_size 0
		.amdhsa_private_segment_fixed_size 0
		.amdhsa_kernarg_size 96
		.amdhsa_user_sgpr_count 6
		.amdhsa_user_sgpr_private_segment_buffer 1
		.amdhsa_user_sgpr_dispatch_ptr 0
		.amdhsa_user_sgpr_queue_ptr 0
		.amdhsa_user_sgpr_kernarg_segment_ptr 1
		.amdhsa_user_sgpr_dispatch_id 0
		.amdhsa_user_sgpr_flat_scratch_init 0
		.amdhsa_user_sgpr_private_segment_size 0
		.amdhsa_wavefront_size32 1
		.amdhsa_uses_dynamic_stack 0
		.amdhsa_system_sgpr_private_segment_wavefront_offset 0
		.amdhsa_system_sgpr_workgroup_id_x 1
		.amdhsa_system_sgpr_workgroup_id_y 0
		.amdhsa_system_sgpr_workgroup_id_z 0
		.amdhsa_system_sgpr_workgroup_info 0
		.amdhsa_system_vgpr_workitem_id 0
		.amdhsa_next_free_vgpr 31
		.amdhsa_next_free_sgpr 28
		.amdhsa_reserve_vcc 1
		.amdhsa_reserve_flat_scratch 0
		.amdhsa_float_round_mode_32 0
		.amdhsa_float_round_mode_16_64 0
		.amdhsa_float_denorm_mode_32 3
		.amdhsa_float_denorm_mode_16_64 3
		.amdhsa_dx10_clamp 1
		.amdhsa_ieee_mode 1
		.amdhsa_fp16_overflow 0
		.amdhsa_workgroup_processor_mode 1
		.amdhsa_memory_ordered 1
		.amdhsa_forward_progress 1
		.amdhsa_shared_vgpr_count 0
		.amdhsa_exception_fp_ieee_invalid_op 0
		.amdhsa_exception_fp_denorm_src 0
		.amdhsa_exception_fp_ieee_div_zero 0
		.amdhsa_exception_fp_ieee_overflow 0
		.amdhsa_exception_fp_ieee_underflow 0
		.amdhsa_exception_fp_ieee_inexact 0
		.amdhsa_exception_int_div_zero 0
	.end_amdhsa_kernel
	.section	.text._ZN9rocsparseL23gebsrmvn_general_kernelILj512ELj16E21rocsparse_complex_numIdEEEvi20rocsparse_direction_NS_24const_host_device_scalarIT1_EEPKiS8_PKS5_iiSA_S6_PS5_21rocsparse_index_base_b,"axG",@progbits,_ZN9rocsparseL23gebsrmvn_general_kernelILj512ELj16E21rocsparse_complex_numIdEEEvi20rocsparse_direction_NS_24const_host_device_scalarIT1_EEPKiS8_PKS5_iiSA_S6_PS5_21rocsparse_index_base_b,comdat
.Lfunc_end18:
	.size	_ZN9rocsparseL23gebsrmvn_general_kernelILj512ELj16E21rocsparse_complex_numIdEEEvi20rocsparse_direction_NS_24const_host_device_scalarIT1_EEPKiS8_PKS5_iiSA_S6_PS5_21rocsparse_index_base_b, .Lfunc_end18-_ZN9rocsparseL23gebsrmvn_general_kernelILj512ELj16E21rocsparse_complex_numIdEEEvi20rocsparse_direction_NS_24const_host_device_scalarIT1_EEPKiS8_PKS5_iiSA_S6_PS5_21rocsparse_index_base_b
                                        ; -- End function
	.set _ZN9rocsparseL23gebsrmvn_general_kernelILj512ELj16E21rocsparse_complex_numIdEEEvi20rocsparse_direction_NS_24const_host_device_scalarIT1_EEPKiS8_PKS5_iiSA_S6_PS5_21rocsparse_index_base_b.num_vgpr, 31
	.set _ZN9rocsparseL23gebsrmvn_general_kernelILj512ELj16E21rocsparse_complex_numIdEEEvi20rocsparse_direction_NS_24const_host_device_scalarIT1_EEPKiS8_PKS5_iiSA_S6_PS5_21rocsparse_index_base_b.num_agpr, 0
	.set _ZN9rocsparseL23gebsrmvn_general_kernelILj512ELj16E21rocsparse_complex_numIdEEEvi20rocsparse_direction_NS_24const_host_device_scalarIT1_EEPKiS8_PKS5_iiSA_S6_PS5_21rocsparse_index_base_b.numbered_sgpr, 28
	.set _ZN9rocsparseL23gebsrmvn_general_kernelILj512ELj16E21rocsparse_complex_numIdEEEvi20rocsparse_direction_NS_24const_host_device_scalarIT1_EEPKiS8_PKS5_iiSA_S6_PS5_21rocsparse_index_base_b.num_named_barrier, 0
	.set _ZN9rocsparseL23gebsrmvn_general_kernelILj512ELj16E21rocsparse_complex_numIdEEEvi20rocsparse_direction_NS_24const_host_device_scalarIT1_EEPKiS8_PKS5_iiSA_S6_PS5_21rocsparse_index_base_b.private_seg_size, 0
	.set _ZN9rocsparseL23gebsrmvn_general_kernelILj512ELj16E21rocsparse_complex_numIdEEEvi20rocsparse_direction_NS_24const_host_device_scalarIT1_EEPKiS8_PKS5_iiSA_S6_PS5_21rocsparse_index_base_b.uses_vcc, 1
	.set _ZN9rocsparseL23gebsrmvn_general_kernelILj512ELj16E21rocsparse_complex_numIdEEEvi20rocsparse_direction_NS_24const_host_device_scalarIT1_EEPKiS8_PKS5_iiSA_S6_PS5_21rocsparse_index_base_b.uses_flat_scratch, 0
	.set _ZN9rocsparseL23gebsrmvn_general_kernelILj512ELj16E21rocsparse_complex_numIdEEEvi20rocsparse_direction_NS_24const_host_device_scalarIT1_EEPKiS8_PKS5_iiSA_S6_PS5_21rocsparse_index_base_b.has_dyn_sized_stack, 0
	.set _ZN9rocsparseL23gebsrmvn_general_kernelILj512ELj16E21rocsparse_complex_numIdEEEvi20rocsparse_direction_NS_24const_host_device_scalarIT1_EEPKiS8_PKS5_iiSA_S6_PS5_21rocsparse_index_base_b.has_recursion, 0
	.set _ZN9rocsparseL23gebsrmvn_general_kernelILj512ELj16E21rocsparse_complex_numIdEEEvi20rocsparse_direction_NS_24const_host_device_scalarIT1_EEPKiS8_PKS5_iiSA_S6_PS5_21rocsparse_index_base_b.has_indirect_call, 0
	.section	.AMDGPU.csdata,"",@progbits
; Kernel info:
; codeLenInByte = 1292
; TotalNumSgprs: 30
; NumVgprs: 31
; ScratchSize: 0
; MemoryBound: 0
; FloatMode: 240
; IeeeMode: 1
; LDSByteSize: 0 bytes/workgroup (compile time only)
; SGPRBlocks: 0
; VGPRBlocks: 3
; NumSGPRsForWavesPerEU: 30
; NumVGPRsForWavesPerEU: 31
; Occupancy: 16
; WaveLimiterHint : 1
; COMPUTE_PGM_RSRC2:SCRATCH_EN: 0
; COMPUTE_PGM_RSRC2:USER_SGPR: 6
; COMPUTE_PGM_RSRC2:TRAP_HANDLER: 0
; COMPUTE_PGM_RSRC2:TGID_X_EN: 1
; COMPUTE_PGM_RSRC2:TGID_Y_EN: 0
; COMPUTE_PGM_RSRC2:TGID_Z_EN: 0
; COMPUTE_PGM_RSRC2:TIDIG_COMP_CNT: 0
	.section	.text._ZN9rocsparseL23gebsrmvn_general_kernelILj1024ELj32E21rocsparse_complex_numIdEEEvi20rocsparse_direction_NS_24const_host_device_scalarIT1_EEPKiS8_PKS5_iiSA_S6_PS5_21rocsparse_index_base_b,"axG",@progbits,_ZN9rocsparseL23gebsrmvn_general_kernelILj1024ELj32E21rocsparse_complex_numIdEEEvi20rocsparse_direction_NS_24const_host_device_scalarIT1_EEPKiS8_PKS5_iiSA_S6_PS5_21rocsparse_index_base_b,comdat
	.globl	_ZN9rocsparseL23gebsrmvn_general_kernelILj1024ELj32E21rocsparse_complex_numIdEEEvi20rocsparse_direction_NS_24const_host_device_scalarIT1_EEPKiS8_PKS5_iiSA_S6_PS5_21rocsparse_index_base_b ; -- Begin function _ZN9rocsparseL23gebsrmvn_general_kernelILj1024ELj32E21rocsparse_complex_numIdEEEvi20rocsparse_direction_NS_24const_host_device_scalarIT1_EEPKiS8_PKS5_iiSA_S6_PS5_21rocsparse_index_base_b
	.p2align	8
	.type	_ZN9rocsparseL23gebsrmvn_general_kernelILj1024ELj32E21rocsparse_complex_numIdEEEvi20rocsparse_direction_NS_24const_host_device_scalarIT1_EEPKiS8_PKS5_iiSA_S6_PS5_21rocsparse_index_base_b,@function
_ZN9rocsparseL23gebsrmvn_general_kernelILj1024ELj32E21rocsparse_complex_numIdEEEvi20rocsparse_direction_NS_24const_host_device_scalarIT1_EEPKiS8_PKS5_iiSA_S6_PS5_21rocsparse_index_base_b: ; @_ZN9rocsparseL23gebsrmvn_general_kernelILj1024ELj32E21rocsparse_complex_numIdEEEvi20rocsparse_direction_NS_24const_host_device_scalarIT1_EEPKiS8_PKS5_iiSA_S6_PS5_21rocsparse_index_base_b
; %bb.0:
	s_clause 0x1
	s_load_dwordx2 s[12:13], s[4:5], 0x58
	s_load_dwordx2 s[0:1], s[4:5], 0x8
	s_add_u32 s7, s4, 8
	s_addc_u32 s8, s5, 0
	s_add_u32 s9, s4, 64
	s_addc_u32 s10, s5, 0
	s_load_dwordx2 s[2:3], s[4:5], 0x40
	s_waitcnt lgkmcnt(0)
	s_bitcmp1_b32 s13, 0
	s_cselect_b32 s0, s7, s0
	s_cselect_b32 s1, s8, s1
	v_mov_b32_e32 v1, s0
	v_mov_b32_e32 v2, s1
	s_cselect_b32 s0, s9, s2
	s_cselect_b32 s1, s10, s3
	v_mov_b32_e32 v5, s0
	v_mov_b32_e32 v6, s1
	flat_load_dwordx4 v[1:4], v[1:2]
	flat_load_dwordx4 v[5:8], v[5:6]
	s_waitcnt vmcnt(1) lgkmcnt(1)
	v_cmp_eq_f64_e32 vcc_lo, 0, v[1:2]
	v_cmp_eq_f64_e64 s0, 0, v[3:4]
	s_and_b32 s2, vcc_lo, s0
	s_mov_b32 s0, -1
	s_and_saveexec_b32 s1, s2
	s_cbranch_execz .LBB19_2
; %bb.1:
	s_waitcnt vmcnt(0) lgkmcnt(0)
	v_cmp_neq_f64_e32 vcc_lo, 1.0, v[5:6]
	v_cmp_neq_f64_e64 s0, 0, v[7:8]
	s_or_b32 s0, vcc_lo, s0
	s_orn2_b32 s0, s0, exec_lo
.LBB19_2:
	s_or_b32 exec_lo, exec_lo, s1
	s_and_saveexec_b32 s1, s0
	s_cbranch_execz .LBB19_22
; %bb.3:
	s_load_dwordx2 s[14:15], s[4:5], 0x30
	v_lshrrev_b32_e32 v13, 5, v0
	s_waitcnt lgkmcnt(0)
	v_cmp_gt_i32_e32 vcc_lo, s14, v13
	s_and_b32 exec_lo, exec_lo, vcc_lo
	s_cbranch_execz .LBB19_22
; %bb.4:
	s_clause 0x1
	s_load_dwordx4 s[8:11], s[4:5], 0x18
	s_load_dword s3, s[4:5], 0x4
	v_mbcnt_lo_u32_b32 v11, -1, 0
	s_ashr_i32 s7, s6, 31
	s_waitcnt vmcnt(0)
	v_cmp_eq_f64_e32 vcc_lo, 0, v[5:6]
	s_lshl_b64 s[0:1], s[6:7], 2
	v_cmp_eq_f64_e64 s2, 0, v[7:8]
	v_xor_b32_e32 v9, 16, v11
	v_xor_b32_e32 v10, 8, v11
	;; [unrolled: 1-line block ×5, first 2 shown]
	v_and_b32_e32 v0, 31, v0
	s_mov_b32 s7, 0
	s_mul_i32 s6, s14, s6
	s_mul_i32 s23, s15, s14
	s_waitcnt lgkmcnt(0)
	s_add_u32 s0, s8, s0
	s_addc_u32 s1, s9, s1
	s_clause 0x2
	s_load_dwordx2 s[8:9], s[4:5], 0x50
	s_load_dwordx2 s[16:17], s[4:5], 0x28
	;; [unrolled: 1-line block ×4, first 2 shown]
	v_cmp_gt_i32_e64 s1, 32, v9
	v_cmp_gt_i32_e64 s0, s15, v0
	v_cndmask_b32_e64 v16, v11, v9, s1
	v_cmp_gt_i32_e64 s1, 32, v10
	v_lshlrev_b32_e32 v18, 2, v16
	v_cndmask_b32_e64 v17, v11, v10, s1
	v_cmp_gt_i32_e64 s1, 32, v12
	v_lshlrev_b32_e32 v19, 2, v17
	v_cndmask_b32_e64 v12, v11, v12, s1
	v_cmp_gt_i32_e64 s1, 32, v14
	s_waitcnt lgkmcnt(0)
	s_sub_i32 s13, s20, s12
	s_sub_i32 s18, s21, s12
	s_cmp_lt_i32 s20, s21
	v_lshlrev_b32_e32 v20, 2, v12
	v_cndmask_b32_e64 v14, v11, v14, s1
	v_cmp_gt_i32_e64 s1, 32, v15
	s_cselect_b32 s19, -1, 0
	s_cmp_lg_u32 s3, 0
	v_mad_u64_u32 v[9:10], null, s14, s13, v[13:14]
	v_cndmask_b32_e64 v10, v11, v15, s1
	v_lshlrev_b32_e32 v21, 2, v14
	v_cmp_eq_u32_e64 s1, 31, v0
	s_cselect_b32 s20, -1, 0
	s_and_b32 s21, vcc_lo, s2
	v_lshlrev_b32_e32 v22, 2, v10
	v_mul_lo_u32 v23, s15, v9
	s_lshl_b32 s22, s15, 5
	s_branch .LBB19_6
.LBB19_5:                               ;   in Loop: Header=BB19_6 Depth=1
	s_or_b32 exec_lo, exec_lo, s2
	v_add_nc_u32_e32 v13, 32, v13
	v_add_nc_u32_e32 v23, s22, v23
	v_cmp_le_i32_e32 vcc_lo, s14, v13
	s_or_b32 s7, vcc_lo, s7
	s_andn2_b32 exec_lo, exec_lo, s7
	s_cbranch_execz .LBB19_22
.LBB19_6:                               ; =>This Loop Header: Depth=1
                                        ;     Child Loop BB19_10 Depth 2
                                        ;       Child Loop BB19_13 Depth 3
	v_mov_b32_e32 v9, 0
	v_mov_b32_e32 v11, 0
	;; [unrolled: 1-line block ×4, first 2 shown]
	s_andn2_b32 vcc_lo, exec_lo, s19
	s_cbranch_vccnz .LBB19_17
; %bb.7:                                ;   in Loop: Header=BB19_6 Depth=1
	v_mov_b32_e32 v9, 0
	v_mov_b32_e32 v11, 0
	;; [unrolled: 1-line block ×4, first 2 shown]
	s_waitcnt lgkmcnt(1)
	v_mov_b32_e32 v16, v23
	s_mov_b32 s2, s13
	s_branch .LBB19_10
.LBB19_8:                               ;   in Loop: Header=BB19_10 Depth=2
	s_inst_prefetch 0x2
	s_or_b32 exec_lo, exec_lo, s25
.LBB19_9:                               ;   in Loop: Header=BB19_10 Depth=2
	s_or_b32 exec_lo, exec_lo, s24
	v_add_nc_u32_e32 v16, s23, v16
	s_add_i32 s2, s2, 1
	s_cmp_ge_i32 s2, s18
	s_cbranch_scc1 .LBB19_17
.LBB19_10:                              ;   Parent Loop BB19_6 Depth=1
                                        ; =>  This Loop Header: Depth=2
                                        ;       Child Loop BB19_13 Depth 3
	s_and_saveexec_b32 s24, s0
	s_cbranch_execz .LBB19_9
; %bb.11:                               ;   in Loop: Header=BB19_10 Depth=2
	s_ashr_i32 s3, s2, 31
	s_waitcnt lgkmcnt(0)
	v_mov_b32_e32 v17, v0
	s_lshl_b64 s[26:27], s[2:3], 2
	s_mov_b32 s25, 0
	s_add_u32 s26, s10, s26
	s_addc_u32 s27, s11, s27
	s_load_dword s3, s[26:27], 0x0
	s_waitcnt lgkmcnt(0)
	s_sub_i32 s26, s3, s12
	s_mul_i32 s3, s2, s15
	s_mul_i32 s26, s26, s15
	s_inst_prefetch 0x1
	s_branch .LBB19_13
	.p2align	6
.LBB19_12:                              ;   in Loop: Header=BB19_13 Depth=3
	v_add_nc_u32_e32 v24, s26, v17
	v_ashrrev_i32_e32 v15, 31, v14
	v_add_nc_u32_e32 v17, 32, v17
	v_ashrrev_i32_e32 v25, 31, v24
	v_lshlrev_b64 v[14:15], 4, v[14:15]
	v_lshlrev_b64 v[24:25], 4, v[24:25]
	v_add_co_u32 v14, vcc_lo, s16, v14
	v_add_co_ci_u32_e64 v15, null, s17, v15, vcc_lo
	v_add_co_u32 v28, vcc_lo, s4, v24
	v_add_co_ci_u32_e64 v29, null, s5, v25, vcc_lo
	v_cmp_le_i32_e32 vcc_lo, s15, v17
	global_load_dwordx4 v[24:27], v[14:15], off
	global_load_dwordx4 v[28:31], v[28:29], off
	s_or_b32 s25, vcc_lo, s25
	s_waitcnt vmcnt(0)
	v_fma_f64 v[11:12], v[24:25], v[28:29], v[11:12]
	v_fma_f64 v[9:10], v[26:27], v[28:29], v[9:10]
	v_fma_f64 v[11:12], -v[26:27], v[30:31], v[11:12]
	v_fma_f64 v[9:10], v[24:25], v[30:31], v[9:10]
	s_andn2_b32 exec_lo, exec_lo, s25
	s_cbranch_execz .LBB19_8
.LBB19_13:                              ;   Parent Loop BB19_6 Depth=1
                                        ;     Parent Loop BB19_10 Depth=2
                                        ; =>    This Inner Loop Header: Depth=3
	s_and_b32 vcc_lo, exec_lo, s20
	s_cbranch_vccz .LBB19_15
; %bb.14:                               ;   in Loop: Header=BB19_13 Depth=3
	v_add_nc_u32_e32 v14, s3, v17
	v_mad_u64_u32 v[14:15], null, v14, s14, v[13:14]
	s_cbranch_execnz .LBB19_12
	s_branch .LBB19_16
.LBB19_15:                              ;   in Loop: Header=BB19_13 Depth=3
                                        ; implicit-def: $vgpr14
.LBB19_16:                              ;   in Loop: Header=BB19_13 Depth=3
	v_add_nc_u32_e32 v14, v16, v17
	s_branch .LBB19_12
.LBB19_17:                              ;   in Loop: Header=BB19_6 Depth=1
	s_waitcnt lgkmcnt(3)
	ds_bpermute_b32 v14, v18, v11
	s_waitcnt lgkmcnt(3)
	ds_bpermute_b32 v15, v18, v12
	;; [unrolled: 2-line block ×4, first 2 shown]
	s_waitcnt lgkmcnt(2)
	v_add_f64 v[11:12], v[11:12], v[14:15]
	s_waitcnt lgkmcnt(0)
	v_add_f64 v[9:10], v[9:10], v[16:17]
	ds_bpermute_b32 v14, v19, v11
	ds_bpermute_b32 v15, v19, v12
	ds_bpermute_b32 v16, v19, v9
	ds_bpermute_b32 v17, v19, v10
	s_waitcnt lgkmcnt(2)
	v_add_f64 v[11:12], v[11:12], v[14:15]
	s_waitcnt lgkmcnt(0)
	v_add_f64 v[9:10], v[9:10], v[16:17]
	ds_bpermute_b32 v14, v20, v11
	ds_bpermute_b32 v15, v20, v12
	ds_bpermute_b32 v16, v20, v9
	ds_bpermute_b32 v17, v20, v10
	;; [unrolled: 8-line block ×4, first 2 shown]
	s_and_saveexec_b32 s2, s1
	s_cbranch_execz .LBB19_5
; %bb.18:                               ;   in Loop: Header=BB19_6 Depth=1
	s_waitcnt lgkmcnt(0)
	v_add_f64 v[11:12], v[11:12], v[16:17]
	v_add_f64 v[14:15], v[9:10], v[14:15]
	v_mul_f64 v[9:10], v[11:12], -v[3:4]
	v_mul_f64 v[11:12], v[1:2], v[11:12]
	v_fma_f64 v[9:10], v[1:2], v[14:15], v[9:10]
	v_fma_f64 v[11:12], v[3:4], v[14:15], v[11:12]
	v_add_nc_u32_e32 v14, s6, v13
	v_ashrrev_i32_e32 v15, 31, v14
	s_and_saveexec_b32 s3, s21
	s_xor_b32 s3, exec_lo, s3
	s_cbranch_execz .LBB19_20
; %bb.19:                               ;   in Loop: Header=BB19_6 Depth=1
	v_lshlrev_b64 v[14:15], 4, v[14:15]
	v_add_co_u32 v14, vcc_lo, s8, v14
	v_add_co_ci_u32_e64 v15, null, s9, v15, vcc_lo
	global_store_dwordx4 v[14:15], v[9:12], off
                                        ; implicit-def: $vgpr14
                                        ; implicit-def: $vgpr9_vgpr10
.LBB19_20:                              ;   in Loop: Header=BB19_6 Depth=1
	s_andn2_saveexec_b32 s3, s3
	s_cbranch_execz .LBB19_5
; %bb.21:                               ;   in Loop: Header=BB19_6 Depth=1
	v_lshlrev_b64 v[14:15], 4, v[14:15]
	v_add_co_u32 v24, vcc_lo, s8, v14
	v_add_co_ci_u32_e64 v25, null, s9, v15, vcc_lo
	global_load_dwordx4 v[14:17], v[24:25], off
	s_waitcnt vmcnt(0)
	v_fma_f64 v[9:10], v[5:6], v[14:15], v[9:10]
	v_fma_f64 v[11:12], v[7:8], v[14:15], v[11:12]
	v_fma_f64 v[9:10], -v[7:8], v[16:17], v[9:10]
	v_fma_f64 v[11:12], v[5:6], v[16:17], v[11:12]
	global_store_dwordx4 v[24:25], v[9:12], off
	s_branch .LBB19_5
.LBB19_22:
	s_endpgm
	.section	.rodata,"a",@progbits
	.p2align	6, 0x0
	.amdhsa_kernel _ZN9rocsparseL23gebsrmvn_general_kernelILj1024ELj32E21rocsparse_complex_numIdEEEvi20rocsparse_direction_NS_24const_host_device_scalarIT1_EEPKiS8_PKS5_iiSA_S6_PS5_21rocsparse_index_base_b
		.amdhsa_group_segment_fixed_size 0
		.amdhsa_private_segment_fixed_size 0
		.amdhsa_kernarg_size 96
		.amdhsa_user_sgpr_count 6
		.amdhsa_user_sgpr_private_segment_buffer 1
		.amdhsa_user_sgpr_dispatch_ptr 0
		.amdhsa_user_sgpr_queue_ptr 0
		.amdhsa_user_sgpr_kernarg_segment_ptr 1
		.amdhsa_user_sgpr_dispatch_id 0
		.amdhsa_user_sgpr_flat_scratch_init 0
		.amdhsa_user_sgpr_private_segment_size 0
		.amdhsa_wavefront_size32 1
		.amdhsa_uses_dynamic_stack 0
		.amdhsa_system_sgpr_private_segment_wavefront_offset 0
		.amdhsa_system_sgpr_workgroup_id_x 1
		.amdhsa_system_sgpr_workgroup_id_y 0
		.amdhsa_system_sgpr_workgroup_id_z 0
		.amdhsa_system_sgpr_workgroup_info 0
		.amdhsa_system_vgpr_workitem_id 0
		.amdhsa_next_free_vgpr 32
		.amdhsa_next_free_sgpr 28
		.amdhsa_reserve_vcc 1
		.amdhsa_reserve_flat_scratch 0
		.amdhsa_float_round_mode_32 0
		.amdhsa_float_round_mode_16_64 0
		.amdhsa_float_denorm_mode_32 3
		.amdhsa_float_denorm_mode_16_64 3
		.amdhsa_dx10_clamp 1
		.amdhsa_ieee_mode 1
		.amdhsa_fp16_overflow 0
		.amdhsa_workgroup_processor_mode 1
		.amdhsa_memory_ordered 1
		.amdhsa_forward_progress 1
		.amdhsa_shared_vgpr_count 0
		.amdhsa_exception_fp_ieee_invalid_op 0
		.amdhsa_exception_fp_denorm_src 0
		.amdhsa_exception_fp_ieee_div_zero 0
		.amdhsa_exception_fp_ieee_overflow 0
		.amdhsa_exception_fp_ieee_underflow 0
		.amdhsa_exception_fp_ieee_inexact 0
		.amdhsa_exception_int_div_zero 0
	.end_amdhsa_kernel
	.section	.text._ZN9rocsparseL23gebsrmvn_general_kernelILj1024ELj32E21rocsparse_complex_numIdEEEvi20rocsparse_direction_NS_24const_host_device_scalarIT1_EEPKiS8_PKS5_iiSA_S6_PS5_21rocsparse_index_base_b,"axG",@progbits,_ZN9rocsparseL23gebsrmvn_general_kernelILj1024ELj32E21rocsparse_complex_numIdEEEvi20rocsparse_direction_NS_24const_host_device_scalarIT1_EEPKiS8_PKS5_iiSA_S6_PS5_21rocsparse_index_base_b,comdat
.Lfunc_end19:
	.size	_ZN9rocsparseL23gebsrmvn_general_kernelILj1024ELj32E21rocsparse_complex_numIdEEEvi20rocsparse_direction_NS_24const_host_device_scalarIT1_EEPKiS8_PKS5_iiSA_S6_PS5_21rocsparse_index_base_b, .Lfunc_end19-_ZN9rocsparseL23gebsrmvn_general_kernelILj1024ELj32E21rocsparse_complex_numIdEEEvi20rocsparse_direction_NS_24const_host_device_scalarIT1_EEPKiS8_PKS5_iiSA_S6_PS5_21rocsparse_index_base_b
                                        ; -- End function
	.set _ZN9rocsparseL23gebsrmvn_general_kernelILj1024ELj32E21rocsparse_complex_numIdEEEvi20rocsparse_direction_NS_24const_host_device_scalarIT1_EEPKiS8_PKS5_iiSA_S6_PS5_21rocsparse_index_base_b.num_vgpr, 32
	.set _ZN9rocsparseL23gebsrmvn_general_kernelILj1024ELj32E21rocsparse_complex_numIdEEEvi20rocsparse_direction_NS_24const_host_device_scalarIT1_EEPKiS8_PKS5_iiSA_S6_PS5_21rocsparse_index_base_b.num_agpr, 0
	.set _ZN9rocsparseL23gebsrmvn_general_kernelILj1024ELj32E21rocsparse_complex_numIdEEEvi20rocsparse_direction_NS_24const_host_device_scalarIT1_EEPKiS8_PKS5_iiSA_S6_PS5_21rocsparse_index_base_b.numbered_sgpr, 28
	.set _ZN9rocsparseL23gebsrmvn_general_kernelILj1024ELj32E21rocsparse_complex_numIdEEEvi20rocsparse_direction_NS_24const_host_device_scalarIT1_EEPKiS8_PKS5_iiSA_S6_PS5_21rocsparse_index_base_b.num_named_barrier, 0
	.set _ZN9rocsparseL23gebsrmvn_general_kernelILj1024ELj32E21rocsparse_complex_numIdEEEvi20rocsparse_direction_NS_24const_host_device_scalarIT1_EEPKiS8_PKS5_iiSA_S6_PS5_21rocsparse_index_base_b.private_seg_size, 0
	.set _ZN9rocsparseL23gebsrmvn_general_kernelILj1024ELj32E21rocsparse_complex_numIdEEEvi20rocsparse_direction_NS_24const_host_device_scalarIT1_EEPKiS8_PKS5_iiSA_S6_PS5_21rocsparse_index_base_b.uses_vcc, 1
	.set _ZN9rocsparseL23gebsrmvn_general_kernelILj1024ELj32E21rocsparse_complex_numIdEEEvi20rocsparse_direction_NS_24const_host_device_scalarIT1_EEPKiS8_PKS5_iiSA_S6_PS5_21rocsparse_index_base_b.uses_flat_scratch, 0
	.set _ZN9rocsparseL23gebsrmvn_general_kernelILj1024ELj32E21rocsparse_complex_numIdEEEvi20rocsparse_direction_NS_24const_host_device_scalarIT1_EEPKiS8_PKS5_iiSA_S6_PS5_21rocsparse_index_base_b.has_dyn_sized_stack, 0
	.set _ZN9rocsparseL23gebsrmvn_general_kernelILj1024ELj32E21rocsparse_complex_numIdEEEvi20rocsparse_direction_NS_24const_host_device_scalarIT1_EEPKiS8_PKS5_iiSA_S6_PS5_21rocsparse_index_base_b.has_recursion, 0
	.set _ZN9rocsparseL23gebsrmvn_general_kernelILj1024ELj32E21rocsparse_complex_numIdEEEvi20rocsparse_direction_NS_24const_host_device_scalarIT1_EEPKiS8_PKS5_iiSA_S6_PS5_21rocsparse_index_base_b.has_indirect_call, 0
	.section	.AMDGPU.csdata,"",@progbits
; Kernel info:
; codeLenInByte = 1348
; TotalNumSgprs: 30
; NumVgprs: 32
; ScratchSize: 0
; MemoryBound: 0
; FloatMode: 240
; IeeeMode: 1
; LDSByteSize: 0 bytes/workgroup (compile time only)
; SGPRBlocks: 0
; VGPRBlocks: 3
; NumSGPRsForWavesPerEU: 30
; NumVGPRsForWavesPerEU: 32
; Occupancy: 16
; WaveLimiterHint : 1
; COMPUTE_PGM_RSRC2:SCRATCH_EN: 0
; COMPUTE_PGM_RSRC2:USER_SGPR: 6
; COMPUTE_PGM_RSRC2:TRAP_HANDLER: 0
; COMPUTE_PGM_RSRC2:TGID_X_EN: 1
; COMPUTE_PGM_RSRC2:TGID_Y_EN: 0
; COMPUTE_PGM_RSRC2:TGID_Z_EN: 0
; COMPUTE_PGM_RSRC2:TIDIG_COMP_CNT: 0
	.section	.AMDGPU.gpr_maximums,"",@progbits
	.set amdgpu.max_num_vgpr, 0
	.set amdgpu.max_num_agpr, 0
	.set amdgpu.max_num_sgpr, 0
	.section	.AMDGPU.csdata,"",@progbits
	.type	__hip_cuid_91c7c9e13174322c,@object ; @__hip_cuid_91c7c9e13174322c
	.section	.bss,"aw",@nobits
	.globl	__hip_cuid_91c7c9e13174322c
__hip_cuid_91c7c9e13174322c:
	.byte	0                               ; 0x0
	.size	__hip_cuid_91c7c9e13174322c, 1

	.ident	"AMD clang version 22.0.0git (https://github.com/RadeonOpenCompute/llvm-project roc-7.2.4 26084 f58b06dce1f9c15707c5f808fd002e18c2accf7e)"
	.section	".note.GNU-stack","",@progbits
	.addrsig
	.addrsig_sym __hip_cuid_91c7c9e13174322c
	.amdgpu_metadata
---
amdhsa.kernels:
  - .args:
      - .offset:         0
        .size:           4
        .value_kind:     by_value
      - .offset:         4
        .size:           4
        .value_kind:     by_value
      - .offset:         8
        .size:           8
        .value_kind:     by_value
      - .actual_access:  read_only
        .address_space:  global
        .offset:         16
        .size:           8
        .value_kind:     global_buffer
      - .actual_access:  read_only
        .address_space:  global
        .offset:         24
        .size:           8
        .value_kind:     global_buffer
      - .actual_access:  read_only
        .address_space:  global
        .offset:         32
        .size:           8
        .value_kind:     global_buffer
      - .offset:         40
        .size:           4
        .value_kind:     by_value
      - .offset:         44
        .size:           4
        .value_kind:     by_value
      - .actual_access:  read_only
        .address_space:  global
        .offset:         48
        .size:           8
        .value_kind:     global_buffer
      - .offset:         56
        .size:           8
        .value_kind:     by_value
      - .address_space:  global
        .offset:         64
        .size:           8
        .value_kind:     global_buffer
      - .offset:         72
        .size:           4
        .value_kind:     by_value
      - .offset:         76
        .size:           1
        .value_kind:     by_value
    .group_segment_fixed_size: 0
    .kernarg_segment_align: 8
    .kernarg_segment_size: 80
    .language:       OpenCL C
    .language_version:
      - 2
      - 0
    .max_flat_workgroup_size: 64
    .name:           _ZN9rocsparseL23gebsrmvn_general_kernelILj64ELj2EfEEvi20rocsparse_direction_NS_24const_host_device_scalarIT1_EEPKiS6_PKS3_iiS8_S4_PS3_21rocsparse_index_base_b
    .private_segment_fixed_size: 0
    .sgpr_count:     32
    .sgpr_spill_count: 0
    .symbol:         _ZN9rocsparseL23gebsrmvn_general_kernelILj64ELj2EfEEvi20rocsparse_direction_NS_24const_host_device_scalarIT1_EEPKiS6_PKS3_iiS8_S4_PS3_21rocsparse_index_base_b.kd
    .uniform_work_group_size: 1
    .uses_dynamic_stack: false
    .vgpr_count:     11
    .vgpr_spill_count: 0
    .wavefront_size: 32
    .workgroup_processor_mode: 1
  - .args:
      - .offset:         0
        .size:           4
        .value_kind:     by_value
      - .offset:         4
        .size:           4
        .value_kind:     by_value
      - .offset:         8
        .size:           8
        .value_kind:     by_value
      - .actual_access:  read_only
        .address_space:  global
        .offset:         16
        .size:           8
        .value_kind:     global_buffer
      - .actual_access:  read_only
        .address_space:  global
        .offset:         24
        .size:           8
        .value_kind:     global_buffer
      - .actual_access:  read_only
        .address_space:  global
        .offset:         32
        .size:           8
        .value_kind:     global_buffer
      - .offset:         40
        .size:           4
        .value_kind:     by_value
      - .offset:         44
        .size:           4
        .value_kind:     by_value
      - .actual_access:  read_only
        .address_space:  global
        .offset:         48
        .size:           8
        .value_kind:     global_buffer
      - .offset:         56
        .size:           8
        .value_kind:     by_value
      - .address_space:  global
        .offset:         64
        .size:           8
        .value_kind:     global_buffer
      - .offset:         72
        .size:           4
        .value_kind:     by_value
      - .offset:         76
        .size:           1
        .value_kind:     by_value
    .group_segment_fixed_size: 0
    .kernarg_segment_align: 8
    .kernarg_segment_size: 80
    .language:       OpenCL C
    .language_version:
      - 2
      - 0
    .max_flat_workgroup_size: 128
    .name:           _ZN9rocsparseL23gebsrmvn_general_kernelILj128ELj4EfEEvi20rocsparse_direction_NS_24const_host_device_scalarIT1_EEPKiS6_PKS3_iiS8_S4_PS3_21rocsparse_index_base_b
    .private_segment_fixed_size: 0
    .sgpr_count:     32
    .sgpr_spill_count: 0
    .symbol:         _ZN9rocsparseL23gebsrmvn_general_kernelILj128ELj4EfEEvi20rocsparse_direction_NS_24const_host_device_scalarIT1_EEPKiS6_PKS3_iiS8_S4_PS3_21rocsparse_index_base_b.kd
    .uniform_work_group_size: 1
    .uses_dynamic_stack: false
    .vgpr_count:     12
    .vgpr_spill_count: 0
    .wavefront_size: 32
    .workgroup_processor_mode: 1
  - .args:
      - .offset:         0
        .size:           4
        .value_kind:     by_value
      - .offset:         4
        .size:           4
        .value_kind:     by_value
      - .offset:         8
        .size:           8
        .value_kind:     by_value
      - .actual_access:  read_only
        .address_space:  global
        .offset:         16
        .size:           8
        .value_kind:     global_buffer
      - .actual_access:  read_only
        .address_space:  global
        .offset:         24
        .size:           8
        .value_kind:     global_buffer
      - .actual_access:  read_only
        .address_space:  global
        .offset:         32
        .size:           8
        .value_kind:     global_buffer
      - .offset:         40
        .size:           4
        .value_kind:     by_value
      - .offset:         44
        .size:           4
        .value_kind:     by_value
      - .actual_access:  read_only
        .address_space:  global
        .offset:         48
        .size:           8
        .value_kind:     global_buffer
      - .offset:         56
        .size:           8
        .value_kind:     by_value
      - .address_space:  global
        .offset:         64
        .size:           8
        .value_kind:     global_buffer
      - .offset:         72
        .size:           4
        .value_kind:     by_value
      - .offset:         76
        .size:           1
        .value_kind:     by_value
    .group_segment_fixed_size: 0
    .kernarg_segment_align: 8
    .kernarg_segment_size: 80
    .language:       OpenCL C
    .language_version:
      - 2
      - 0
    .max_flat_workgroup_size: 256
    .name:           _ZN9rocsparseL23gebsrmvn_general_kernelILj256ELj8EfEEvi20rocsparse_direction_NS_24const_host_device_scalarIT1_EEPKiS6_PKS3_iiS8_S4_PS3_21rocsparse_index_base_b
    .private_segment_fixed_size: 0
    .sgpr_count:     32
    .sgpr_spill_count: 0
    .symbol:         _ZN9rocsparseL23gebsrmvn_general_kernelILj256ELj8EfEEvi20rocsparse_direction_NS_24const_host_device_scalarIT1_EEPKiS6_PKS3_iiS8_S4_PS3_21rocsparse_index_base_b.kd
    .uniform_work_group_size: 1
    .uses_dynamic_stack: false
    .vgpr_count:     13
    .vgpr_spill_count: 0
    .wavefront_size: 32
    .workgroup_processor_mode: 1
  - .args:
      - .offset:         0
        .size:           4
        .value_kind:     by_value
      - .offset:         4
        .size:           4
        .value_kind:     by_value
      - .offset:         8
        .size:           8
        .value_kind:     by_value
      - .actual_access:  read_only
        .address_space:  global
        .offset:         16
        .size:           8
        .value_kind:     global_buffer
      - .actual_access:  read_only
        .address_space:  global
        .offset:         24
        .size:           8
        .value_kind:     global_buffer
      - .actual_access:  read_only
        .address_space:  global
        .offset:         32
        .size:           8
        .value_kind:     global_buffer
      - .offset:         40
        .size:           4
        .value_kind:     by_value
      - .offset:         44
        .size:           4
        .value_kind:     by_value
      - .actual_access:  read_only
        .address_space:  global
        .offset:         48
        .size:           8
        .value_kind:     global_buffer
      - .offset:         56
        .size:           8
        .value_kind:     by_value
      - .address_space:  global
        .offset:         64
        .size:           8
        .value_kind:     global_buffer
      - .offset:         72
        .size:           4
        .value_kind:     by_value
      - .offset:         76
        .size:           1
        .value_kind:     by_value
    .group_segment_fixed_size: 0
    .kernarg_segment_align: 8
    .kernarg_segment_size: 80
    .language:       OpenCL C
    .language_version:
      - 2
      - 0
    .max_flat_workgroup_size: 512
    .name:           _ZN9rocsparseL23gebsrmvn_general_kernelILj512ELj16EfEEvi20rocsparse_direction_NS_24const_host_device_scalarIT1_EEPKiS6_PKS3_iiS8_S4_PS3_21rocsparse_index_base_b
    .private_segment_fixed_size: 0
    .sgpr_count:     32
    .sgpr_spill_count: 0
    .symbol:         _ZN9rocsparseL23gebsrmvn_general_kernelILj512ELj16EfEEvi20rocsparse_direction_NS_24const_host_device_scalarIT1_EEPKiS6_PKS3_iiS8_S4_PS3_21rocsparse_index_base_b.kd
    .uniform_work_group_size: 1
    .uses_dynamic_stack: false
    .vgpr_count:     14
    .vgpr_spill_count: 0
    .wavefront_size: 32
    .workgroup_processor_mode: 1
  - .args:
      - .offset:         0
        .size:           4
        .value_kind:     by_value
      - .offset:         4
        .size:           4
        .value_kind:     by_value
      - .offset:         8
        .size:           8
        .value_kind:     by_value
      - .actual_access:  read_only
        .address_space:  global
        .offset:         16
        .size:           8
        .value_kind:     global_buffer
      - .actual_access:  read_only
        .address_space:  global
        .offset:         24
        .size:           8
        .value_kind:     global_buffer
      - .actual_access:  read_only
        .address_space:  global
        .offset:         32
        .size:           8
        .value_kind:     global_buffer
      - .offset:         40
        .size:           4
        .value_kind:     by_value
      - .offset:         44
        .size:           4
        .value_kind:     by_value
      - .actual_access:  read_only
        .address_space:  global
        .offset:         48
        .size:           8
        .value_kind:     global_buffer
      - .offset:         56
        .size:           8
        .value_kind:     by_value
      - .address_space:  global
        .offset:         64
        .size:           8
        .value_kind:     global_buffer
      - .offset:         72
        .size:           4
        .value_kind:     by_value
      - .offset:         76
        .size:           1
        .value_kind:     by_value
    .group_segment_fixed_size: 0
    .kernarg_segment_align: 8
    .kernarg_segment_size: 80
    .language:       OpenCL C
    .language_version:
      - 2
      - 0
    .max_flat_workgroup_size: 1024
    .name:           _ZN9rocsparseL23gebsrmvn_general_kernelILj1024ELj32EfEEvi20rocsparse_direction_NS_24const_host_device_scalarIT1_EEPKiS6_PKS3_iiS8_S4_PS3_21rocsparse_index_base_b
    .private_segment_fixed_size: 0
    .sgpr_count:     32
    .sgpr_spill_count: 0
    .symbol:         _ZN9rocsparseL23gebsrmvn_general_kernelILj1024ELj32EfEEvi20rocsparse_direction_NS_24const_host_device_scalarIT1_EEPKiS6_PKS3_iiS8_S4_PS3_21rocsparse_index_base_b.kd
    .uniform_work_group_size: 1
    .uses_dynamic_stack: false
    .vgpr_count:     15
    .vgpr_spill_count: 0
    .wavefront_size: 32
    .workgroup_processor_mode: 1
  - .args:
      - .offset:         0
        .size:           4
        .value_kind:     by_value
      - .offset:         4
        .size:           4
        .value_kind:     by_value
      - .offset:         8
        .size:           8
        .value_kind:     by_value
      - .actual_access:  read_only
        .address_space:  global
        .offset:         16
        .size:           8
        .value_kind:     global_buffer
      - .actual_access:  read_only
        .address_space:  global
        .offset:         24
        .size:           8
        .value_kind:     global_buffer
      - .actual_access:  read_only
        .address_space:  global
        .offset:         32
        .size:           8
        .value_kind:     global_buffer
      - .offset:         40
        .size:           4
        .value_kind:     by_value
      - .offset:         44
        .size:           4
        .value_kind:     by_value
      - .actual_access:  read_only
        .address_space:  global
        .offset:         48
        .size:           8
        .value_kind:     global_buffer
      - .offset:         56
        .size:           8
        .value_kind:     by_value
      - .address_space:  global
        .offset:         64
        .size:           8
        .value_kind:     global_buffer
      - .offset:         72
        .size:           4
        .value_kind:     by_value
      - .offset:         76
        .size:           1
        .value_kind:     by_value
    .group_segment_fixed_size: 0
    .kernarg_segment_align: 8
    .kernarg_segment_size: 80
    .language:       OpenCL C
    .language_version:
      - 2
      - 0
    .max_flat_workgroup_size: 64
    .name:           _ZN9rocsparseL23gebsrmvn_general_kernelILj64ELj2EdEEvi20rocsparse_direction_NS_24const_host_device_scalarIT1_EEPKiS6_PKS3_iiS8_S4_PS3_21rocsparse_index_base_b
    .private_segment_fixed_size: 0
    .sgpr_count:     30
    .sgpr_spill_count: 0
    .symbol:         _ZN9rocsparseL23gebsrmvn_general_kernelILj64ELj2EdEEvi20rocsparse_direction_NS_24const_host_device_scalarIT1_EEPKiS6_PKS3_iiS8_S4_PS3_21rocsparse_index_base_b.kd
    .uniform_work_group_size: 1
    .uses_dynamic_stack: false
    .vgpr_count:     16
    .vgpr_spill_count: 0
    .wavefront_size: 32
    .workgroup_processor_mode: 1
  - .args:
      - .offset:         0
        .size:           4
        .value_kind:     by_value
      - .offset:         4
        .size:           4
        .value_kind:     by_value
      - .offset:         8
        .size:           8
        .value_kind:     by_value
      - .actual_access:  read_only
        .address_space:  global
        .offset:         16
        .size:           8
        .value_kind:     global_buffer
      - .actual_access:  read_only
        .address_space:  global
        .offset:         24
        .size:           8
        .value_kind:     global_buffer
      - .actual_access:  read_only
        .address_space:  global
        .offset:         32
        .size:           8
        .value_kind:     global_buffer
      - .offset:         40
        .size:           4
        .value_kind:     by_value
      - .offset:         44
        .size:           4
        .value_kind:     by_value
      - .actual_access:  read_only
        .address_space:  global
        .offset:         48
        .size:           8
        .value_kind:     global_buffer
      - .offset:         56
        .size:           8
        .value_kind:     by_value
      - .address_space:  global
        .offset:         64
        .size:           8
        .value_kind:     global_buffer
      - .offset:         72
        .size:           4
        .value_kind:     by_value
      - .offset:         76
        .size:           1
        .value_kind:     by_value
    .group_segment_fixed_size: 0
    .kernarg_segment_align: 8
    .kernarg_segment_size: 80
    .language:       OpenCL C
    .language_version:
      - 2
      - 0
    .max_flat_workgroup_size: 128
    .name:           _ZN9rocsparseL23gebsrmvn_general_kernelILj128ELj4EdEEvi20rocsparse_direction_NS_24const_host_device_scalarIT1_EEPKiS6_PKS3_iiS8_S4_PS3_21rocsparse_index_base_b
    .private_segment_fixed_size: 0
    .sgpr_count:     30
    .sgpr_spill_count: 0
    .symbol:         _ZN9rocsparseL23gebsrmvn_general_kernelILj128ELj4EdEEvi20rocsparse_direction_NS_24const_host_device_scalarIT1_EEPKiS6_PKS3_iiS8_S4_PS3_21rocsparse_index_base_b.kd
    .uniform_work_group_size: 1
    .uses_dynamic_stack: false
    .vgpr_count:     17
    .vgpr_spill_count: 0
    .wavefront_size: 32
    .workgroup_processor_mode: 1
  - .args:
      - .offset:         0
        .size:           4
        .value_kind:     by_value
      - .offset:         4
        .size:           4
        .value_kind:     by_value
      - .offset:         8
        .size:           8
        .value_kind:     by_value
      - .actual_access:  read_only
        .address_space:  global
        .offset:         16
        .size:           8
        .value_kind:     global_buffer
      - .actual_access:  read_only
        .address_space:  global
        .offset:         24
        .size:           8
        .value_kind:     global_buffer
      - .actual_access:  read_only
        .address_space:  global
        .offset:         32
        .size:           8
        .value_kind:     global_buffer
      - .offset:         40
        .size:           4
        .value_kind:     by_value
      - .offset:         44
        .size:           4
        .value_kind:     by_value
      - .actual_access:  read_only
        .address_space:  global
        .offset:         48
        .size:           8
        .value_kind:     global_buffer
      - .offset:         56
        .size:           8
        .value_kind:     by_value
      - .address_space:  global
        .offset:         64
        .size:           8
        .value_kind:     global_buffer
      - .offset:         72
        .size:           4
        .value_kind:     by_value
      - .offset:         76
        .size:           1
        .value_kind:     by_value
    .group_segment_fixed_size: 0
    .kernarg_segment_align: 8
    .kernarg_segment_size: 80
    .language:       OpenCL C
    .language_version:
      - 2
      - 0
    .max_flat_workgroup_size: 256
    .name:           _ZN9rocsparseL23gebsrmvn_general_kernelILj256ELj8EdEEvi20rocsparse_direction_NS_24const_host_device_scalarIT1_EEPKiS6_PKS3_iiS8_S4_PS3_21rocsparse_index_base_b
    .private_segment_fixed_size: 0
    .sgpr_count:     30
    .sgpr_spill_count: 0
    .symbol:         _ZN9rocsparseL23gebsrmvn_general_kernelILj256ELj8EdEEvi20rocsparse_direction_NS_24const_host_device_scalarIT1_EEPKiS6_PKS3_iiS8_S4_PS3_21rocsparse_index_base_b.kd
    .uniform_work_group_size: 1
    .uses_dynamic_stack: false
    .vgpr_count:     18
    .vgpr_spill_count: 0
    .wavefront_size: 32
    .workgroup_processor_mode: 1
  - .args:
      - .offset:         0
        .size:           4
        .value_kind:     by_value
      - .offset:         4
        .size:           4
        .value_kind:     by_value
      - .offset:         8
        .size:           8
        .value_kind:     by_value
      - .actual_access:  read_only
        .address_space:  global
        .offset:         16
        .size:           8
        .value_kind:     global_buffer
      - .actual_access:  read_only
        .address_space:  global
        .offset:         24
        .size:           8
        .value_kind:     global_buffer
      - .actual_access:  read_only
        .address_space:  global
        .offset:         32
        .size:           8
        .value_kind:     global_buffer
      - .offset:         40
        .size:           4
        .value_kind:     by_value
      - .offset:         44
        .size:           4
        .value_kind:     by_value
      - .actual_access:  read_only
        .address_space:  global
        .offset:         48
        .size:           8
        .value_kind:     global_buffer
      - .offset:         56
        .size:           8
        .value_kind:     by_value
      - .address_space:  global
        .offset:         64
        .size:           8
        .value_kind:     global_buffer
      - .offset:         72
        .size:           4
        .value_kind:     by_value
      - .offset:         76
        .size:           1
        .value_kind:     by_value
    .group_segment_fixed_size: 0
    .kernarg_segment_align: 8
    .kernarg_segment_size: 80
    .language:       OpenCL C
    .language_version:
      - 2
      - 0
    .max_flat_workgroup_size: 512
    .name:           _ZN9rocsparseL23gebsrmvn_general_kernelILj512ELj16EdEEvi20rocsparse_direction_NS_24const_host_device_scalarIT1_EEPKiS6_PKS3_iiS8_S4_PS3_21rocsparse_index_base_b
    .private_segment_fixed_size: 0
    .sgpr_count:     30
    .sgpr_spill_count: 0
    .symbol:         _ZN9rocsparseL23gebsrmvn_general_kernelILj512ELj16EdEEvi20rocsparse_direction_NS_24const_host_device_scalarIT1_EEPKiS6_PKS3_iiS8_S4_PS3_21rocsparse_index_base_b.kd
    .uniform_work_group_size: 1
    .uses_dynamic_stack: false
    .vgpr_count:     19
    .vgpr_spill_count: 0
    .wavefront_size: 32
    .workgroup_processor_mode: 1
  - .args:
      - .offset:         0
        .size:           4
        .value_kind:     by_value
      - .offset:         4
        .size:           4
        .value_kind:     by_value
      - .offset:         8
        .size:           8
        .value_kind:     by_value
      - .actual_access:  read_only
        .address_space:  global
        .offset:         16
        .size:           8
        .value_kind:     global_buffer
      - .actual_access:  read_only
        .address_space:  global
        .offset:         24
        .size:           8
        .value_kind:     global_buffer
      - .actual_access:  read_only
        .address_space:  global
        .offset:         32
        .size:           8
        .value_kind:     global_buffer
      - .offset:         40
        .size:           4
        .value_kind:     by_value
      - .offset:         44
        .size:           4
        .value_kind:     by_value
      - .actual_access:  read_only
        .address_space:  global
        .offset:         48
        .size:           8
        .value_kind:     global_buffer
      - .offset:         56
        .size:           8
        .value_kind:     by_value
      - .address_space:  global
        .offset:         64
        .size:           8
        .value_kind:     global_buffer
      - .offset:         72
        .size:           4
        .value_kind:     by_value
      - .offset:         76
        .size:           1
        .value_kind:     by_value
    .group_segment_fixed_size: 0
    .kernarg_segment_align: 8
    .kernarg_segment_size: 80
    .language:       OpenCL C
    .language_version:
      - 2
      - 0
    .max_flat_workgroup_size: 1024
    .name:           _ZN9rocsparseL23gebsrmvn_general_kernelILj1024ELj32EdEEvi20rocsparse_direction_NS_24const_host_device_scalarIT1_EEPKiS6_PKS3_iiS8_S4_PS3_21rocsparse_index_base_b
    .private_segment_fixed_size: 0
    .sgpr_count:     30
    .sgpr_spill_count: 0
    .symbol:         _ZN9rocsparseL23gebsrmvn_general_kernelILj1024ELj32EdEEvi20rocsparse_direction_NS_24const_host_device_scalarIT1_EEPKiS6_PKS3_iiS8_S4_PS3_21rocsparse_index_base_b.kd
    .uniform_work_group_size: 1
    .uses_dynamic_stack: false
    .vgpr_count:     20
    .vgpr_spill_count: 0
    .wavefront_size: 32
    .workgroup_processor_mode: 1
  - .args:
      - .offset:         0
        .size:           4
        .value_kind:     by_value
      - .offset:         4
        .size:           4
        .value_kind:     by_value
      - .offset:         8
        .size:           8
        .value_kind:     by_value
      - .actual_access:  read_only
        .address_space:  global
        .offset:         16
        .size:           8
        .value_kind:     global_buffer
      - .actual_access:  read_only
        .address_space:  global
        .offset:         24
        .size:           8
        .value_kind:     global_buffer
      - .actual_access:  read_only
        .address_space:  global
        .offset:         32
        .size:           8
        .value_kind:     global_buffer
      - .offset:         40
        .size:           4
        .value_kind:     by_value
      - .offset:         44
        .size:           4
        .value_kind:     by_value
      - .actual_access:  read_only
        .address_space:  global
        .offset:         48
        .size:           8
        .value_kind:     global_buffer
      - .offset:         56
        .size:           8
        .value_kind:     by_value
      - .address_space:  global
        .offset:         64
        .size:           8
        .value_kind:     global_buffer
      - .offset:         72
        .size:           4
        .value_kind:     by_value
      - .offset:         76
        .size:           1
        .value_kind:     by_value
    .group_segment_fixed_size: 0
    .kernarg_segment_align: 8
    .kernarg_segment_size: 80
    .language:       OpenCL C
    .language_version:
      - 2
      - 0
    .max_flat_workgroup_size: 64
    .name:           _ZN9rocsparseL23gebsrmvn_general_kernelILj64ELj2E21rocsparse_complex_numIfEEEvi20rocsparse_direction_NS_24const_host_device_scalarIT1_EEPKiS8_PKS5_iiSA_S6_PS5_21rocsparse_index_base_b
    .private_segment_fixed_size: 0
    .sgpr_count:     30
    .sgpr_spill_count: 0
    .symbol:         _ZN9rocsparseL23gebsrmvn_general_kernelILj64ELj2E21rocsparse_complex_numIfEEEvi20rocsparse_direction_NS_24const_host_device_scalarIT1_EEPKiS8_PKS5_iiSA_S6_PS5_21rocsparse_index_base_b.kd
    .uniform_work_group_size: 1
    .uses_dynamic_stack: false
    .vgpr_count:     16
    .vgpr_spill_count: 0
    .wavefront_size: 32
    .workgroup_processor_mode: 1
  - .args:
      - .offset:         0
        .size:           4
        .value_kind:     by_value
      - .offset:         4
        .size:           4
        .value_kind:     by_value
      - .offset:         8
        .size:           8
        .value_kind:     by_value
      - .actual_access:  read_only
        .address_space:  global
        .offset:         16
        .size:           8
        .value_kind:     global_buffer
      - .actual_access:  read_only
        .address_space:  global
        .offset:         24
        .size:           8
        .value_kind:     global_buffer
      - .actual_access:  read_only
        .address_space:  global
        .offset:         32
        .size:           8
        .value_kind:     global_buffer
      - .offset:         40
        .size:           4
        .value_kind:     by_value
      - .offset:         44
        .size:           4
        .value_kind:     by_value
      - .actual_access:  read_only
        .address_space:  global
        .offset:         48
        .size:           8
        .value_kind:     global_buffer
      - .offset:         56
        .size:           8
        .value_kind:     by_value
      - .address_space:  global
        .offset:         64
        .size:           8
        .value_kind:     global_buffer
      - .offset:         72
        .size:           4
        .value_kind:     by_value
      - .offset:         76
        .size:           1
        .value_kind:     by_value
    .group_segment_fixed_size: 0
    .kernarg_segment_align: 8
    .kernarg_segment_size: 80
    .language:       OpenCL C
    .language_version:
      - 2
      - 0
    .max_flat_workgroup_size: 128
    .name:           _ZN9rocsparseL23gebsrmvn_general_kernelILj128ELj4E21rocsparse_complex_numIfEEEvi20rocsparse_direction_NS_24const_host_device_scalarIT1_EEPKiS8_PKS5_iiSA_S6_PS5_21rocsparse_index_base_b
    .private_segment_fixed_size: 0
    .sgpr_count:     30
    .sgpr_spill_count: 0
    .symbol:         _ZN9rocsparseL23gebsrmvn_general_kernelILj128ELj4E21rocsparse_complex_numIfEEEvi20rocsparse_direction_NS_24const_host_device_scalarIT1_EEPKiS8_PKS5_iiSA_S6_PS5_21rocsparse_index_base_b.kd
    .uniform_work_group_size: 1
    .uses_dynamic_stack: false
    .vgpr_count:     17
    .vgpr_spill_count: 0
    .wavefront_size: 32
    .workgroup_processor_mode: 1
  - .args:
      - .offset:         0
        .size:           4
        .value_kind:     by_value
      - .offset:         4
        .size:           4
        .value_kind:     by_value
      - .offset:         8
        .size:           8
        .value_kind:     by_value
      - .actual_access:  read_only
        .address_space:  global
        .offset:         16
        .size:           8
        .value_kind:     global_buffer
      - .actual_access:  read_only
        .address_space:  global
        .offset:         24
        .size:           8
        .value_kind:     global_buffer
      - .actual_access:  read_only
        .address_space:  global
        .offset:         32
        .size:           8
        .value_kind:     global_buffer
      - .offset:         40
        .size:           4
        .value_kind:     by_value
      - .offset:         44
        .size:           4
        .value_kind:     by_value
      - .actual_access:  read_only
        .address_space:  global
        .offset:         48
        .size:           8
        .value_kind:     global_buffer
      - .offset:         56
        .size:           8
        .value_kind:     by_value
      - .address_space:  global
        .offset:         64
        .size:           8
        .value_kind:     global_buffer
      - .offset:         72
        .size:           4
        .value_kind:     by_value
      - .offset:         76
        .size:           1
        .value_kind:     by_value
    .group_segment_fixed_size: 0
    .kernarg_segment_align: 8
    .kernarg_segment_size: 80
    .language:       OpenCL C
    .language_version:
      - 2
      - 0
    .max_flat_workgroup_size: 256
    .name:           _ZN9rocsparseL23gebsrmvn_general_kernelILj256ELj8E21rocsparse_complex_numIfEEEvi20rocsparse_direction_NS_24const_host_device_scalarIT1_EEPKiS8_PKS5_iiSA_S6_PS5_21rocsparse_index_base_b
    .private_segment_fixed_size: 0
    .sgpr_count:     30
    .sgpr_spill_count: 0
    .symbol:         _ZN9rocsparseL23gebsrmvn_general_kernelILj256ELj8E21rocsparse_complex_numIfEEEvi20rocsparse_direction_NS_24const_host_device_scalarIT1_EEPKiS8_PKS5_iiSA_S6_PS5_21rocsparse_index_base_b.kd
    .uniform_work_group_size: 1
    .uses_dynamic_stack: false
    .vgpr_count:     18
    .vgpr_spill_count: 0
    .wavefront_size: 32
    .workgroup_processor_mode: 1
  - .args:
      - .offset:         0
        .size:           4
        .value_kind:     by_value
      - .offset:         4
        .size:           4
        .value_kind:     by_value
      - .offset:         8
        .size:           8
        .value_kind:     by_value
      - .actual_access:  read_only
        .address_space:  global
        .offset:         16
        .size:           8
        .value_kind:     global_buffer
      - .actual_access:  read_only
        .address_space:  global
        .offset:         24
        .size:           8
        .value_kind:     global_buffer
      - .actual_access:  read_only
        .address_space:  global
        .offset:         32
        .size:           8
        .value_kind:     global_buffer
      - .offset:         40
        .size:           4
        .value_kind:     by_value
      - .offset:         44
        .size:           4
        .value_kind:     by_value
      - .actual_access:  read_only
        .address_space:  global
        .offset:         48
        .size:           8
        .value_kind:     global_buffer
      - .offset:         56
        .size:           8
        .value_kind:     by_value
      - .address_space:  global
        .offset:         64
        .size:           8
        .value_kind:     global_buffer
      - .offset:         72
        .size:           4
        .value_kind:     by_value
      - .offset:         76
        .size:           1
        .value_kind:     by_value
    .group_segment_fixed_size: 0
    .kernarg_segment_align: 8
    .kernarg_segment_size: 80
    .language:       OpenCL C
    .language_version:
      - 2
      - 0
    .max_flat_workgroup_size: 512
    .name:           _ZN9rocsparseL23gebsrmvn_general_kernelILj512ELj16E21rocsparse_complex_numIfEEEvi20rocsparse_direction_NS_24const_host_device_scalarIT1_EEPKiS8_PKS5_iiSA_S6_PS5_21rocsparse_index_base_b
    .private_segment_fixed_size: 0
    .sgpr_count:     30
    .sgpr_spill_count: 0
    .symbol:         _ZN9rocsparseL23gebsrmvn_general_kernelILj512ELj16E21rocsparse_complex_numIfEEEvi20rocsparse_direction_NS_24const_host_device_scalarIT1_EEPKiS8_PKS5_iiSA_S6_PS5_21rocsparse_index_base_b.kd
    .uniform_work_group_size: 1
    .uses_dynamic_stack: false
    .vgpr_count:     19
    .vgpr_spill_count: 0
    .wavefront_size: 32
    .workgroup_processor_mode: 1
  - .args:
      - .offset:         0
        .size:           4
        .value_kind:     by_value
      - .offset:         4
        .size:           4
        .value_kind:     by_value
      - .offset:         8
        .size:           8
        .value_kind:     by_value
      - .actual_access:  read_only
        .address_space:  global
        .offset:         16
        .size:           8
        .value_kind:     global_buffer
      - .actual_access:  read_only
        .address_space:  global
        .offset:         24
        .size:           8
        .value_kind:     global_buffer
      - .actual_access:  read_only
        .address_space:  global
        .offset:         32
        .size:           8
        .value_kind:     global_buffer
      - .offset:         40
        .size:           4
        .value_kind:     by_value
      - .offset:         44
        .size:           4
        .value_kind:     by_value
      - .actual_access:  read_only
        .address_space:  global
        .offset:         48
        .size:           8
        .value_kind:     global_buffer
      - .offset:         56
        .size:           8
        .value_kind:     by_value
      - .address_space:  global
        .offset:         64
        .size:           8
        .value_kind:     global_buffer
      - .offset:         72
        .size:           4
        .value_kind:     by_value
      - .offset:         76
        .size:           1
        .value_kind:     by_value
    .group_segment_fixed_size: 0
    .kernarg_segment_align: 8
    .kernarg_segment_size: 80
    .language:       OpenCL C
    .language_version:
      - 2
      - 0
    .max_flat_workgroup_size: 1024
    .name:           _ZN9rocsparseL23gebsrmvn_general_kernelILj1024ELj32E21rocsparse_complex_numIfEEEvi20rocsparse_direction_NS_24const_host_device_scalarIT1_EEPKiS8_PKS5_iiSA_S6_PS5_21rocsparse_index_base_b
    .private_segment_fixed_size: 0
    .sgpr_count:     30
    .sgpr_spill_count: 0
    .symbol:         _ZN9rocsparseL23gebsrmvn_general_kernelILj1024ELj32E21rocsparse_complex_numIfEEEvi20rocsparse_direction_NS_24const_host_device_scalarIT1_EEPKiS8_PKS5_iiSA_S6_PS5_21rocsparse_index_base_b.kd
    .uniform_work_group_size: 1
    .uses_dynamic_stack: false
    .vgpr_count:     20
    .vgpr_spill_count: 0
    .wavefront_size: 32
    .workgroup_processor_mode: 1
  - .args:
      - .offset:         0
        .size:           4
        .value_kind:     by_value
      - .offset:         4
        .size:           4
        .value_kind:     by_value
      - .offset:         8
        .size:           16
        .value_kind:     by_value
      - .actual_access:  read_only
        .address_space:  global
        .offset:         24
        .size:           8
        .value_kind:     global_buffer
      - .actual_access:  read_only
        .address_space:  global
        .offset:         32
        .size:           8
        .value_kind:     global_buffer
      - .actual_access:  read_only
        .address_space:  global
        .offset:         40
        .size:           8
        .value_kind:     global_buffer
      - .offset:         48
        .size:           4
        .value_kind:     by_value
      - .offset:         52
        .size:           4
        .value_kind:     by_value
      - .actual_access:  read_only
        .address_space:  global
        .offset:         56
        .size:           8
        .value_kind:     global_buffer
      - .offset:         64
        .size:           16
        .value_kind:     by_value
      - .address_space:  global
        .offset:         80
        .size:           8
        .value_kind:     global_buffer
      - .offset:         88
        .size:           4
        .value_kind:     by_value
      - .offset:         92
        .size:           1
        .value_kind:     by_value
    .group_segment_fixed_size: 0
    .kernarg_segment_align: 8
    .kernarg_segment_size: 96
    .language:       OpenCL C
    .language_version:
      - 2
      - 0
    .max_flat_workgroup_size: 64
    .name:           _ZN9rocsparseL23gebsrmvn_general_kernelILj64ELj2E21rocsparse_complex_numIdEEEvi20rocsparse_direction_NS_24const_host_device_scalarIT1_EEPKiS8_PKS5_iiSA_S6_PS5_21rocsparse_index_base_b
    .private_segment_fixed_size: 0
    .sgpr_count:     30
    .sgpr_spill_count: 0
    .symbol:         _ZN9rocsparseL23gebsrmvn_general_kernelILj64ELj2E21rocsparse_complex_numIdEEEvi20rocsparse_direction_NS_24const_host_device_scalarIT1_EEPKiS8_PKS5_iiSA_S6_PS5_21rocsparse_index_base_b.kd
    .uniform_work_group_size: 1
    .uses_dynamic_stack: false
    .vgpr_count:     28
    .vgpr_spill_count: 0
    .wavefront_size: 32
    .workgroup_processor_mode: 1
  - .args:
      - .offset:         0
        .size:           4
        .value_kind:     by_value
      - .offset:         4
        .size:           4
        .value_kind:     by_value
      - .offset:         8
        .size:           16
        .value_kind:     by_value
      - .actual_access:  read_only
        .address_space:  global
        .offset:         24
        .size:           8
        .value_kind:     global_buffer
      - .actual_access:  read_only
        .address_space:  global
        .offset:         32
        .size:           8
        .value_kind:     global_buffer
      - .actual_access:  read_only
        .address_space:  global
        .offset:         40
        .size:           8
        .value_kind:     global_buffer
      - .offset:         48
        .size:           4
        .value_kind:     by_value
      - .offset:         52
        .size:           4
        .value_kind:     by_value
      - .actual_access:  read_only
        .address_space:  global
        .offset:         56
        .size:           8
        .value_kind:     global_buffer
      - .offset:         64
        .size:           16
        .value_kind:     by_value
      - .address_space:  global
        .offset:         80
        .size:           8
        .value_kind:     global_buffer
      - .offset:         88
        .size:           4
        .value_kind:     by_value
      - .offset:         92
        .size:           1
        .value_kind:     by_value
    .group_segment_fixed_size: 0
    .kernarg_segment_align: 8
    .kernarg_segment_size: 96
    .language:       OpenCL C
    .language_version:
      - 2
      - 0
    .max_flat_workgroup_size: 128
    .name:           _ZN9rocsparseL23gebsrmvn_general_kernelILj128ELj4E21rocsparse_complex_numIdEEEvi20rocsparse_direction_NS_24const_host_device_scalarIT1_EEPKiS8_PKS5_iiSA_S6_PS5_21rocsparse_index_base_b
    .private_segment_fixed_size: 0
    .sgpr_count:     30
    .sgpr_spill_count: 0
    .symbol:         _ZN9rocsparseL23gebsrmvn_general_kernelILj128ELj4E21rocsparse_complex_numIdEEEvi20rocsparse_direction_NS_24const_host_device_scalarIT1_EEPKiS8_PKS5_iiSA_S6_PS5_21rocsparse_index_base_b.kd
    .uniform_work_group_size: 1
    .uses_dynamic_stack: false
    .vgpr_count:     29
    .vgpr_spill_count: 0
    .wavefront_size: 32
    .workgroup_processor_mode: 1
  - .args:
      - .offset:         0
        .size:           4
        .value_kind:     by_value
      - .offset:         4
        .size:           4
        .value_kind:     by_value
      - .offset:         8
        .size:           16
        .value_kind:     by_value
      - .actual_access:  read_only
        .address_space:  global
        .offset:         24
        .size:           8
        .value_kind:     global_buffer
      - .actual_access:  read_only
        .address_space:  global
        .offset:         32
        .size:           8
        .value_kind:     global_buffer
      - .actual_access:  read_only
        .address_space:  global
        .offset:         40
        .size:           8
        .value_kind:     global_buffer
      - .offset:         48
        .size:           4
        .value_kind:     by_value
      - .offset:         52
        .size:           4
        .value_kind:     by_value
      - .actual_access:  read_only
        .address_space:  global
        .offset:         56
        .size:           8
        .value_kind:     global_buffer
      - .offset:         64
        .size:           16
        .value_kind:     by_value
      - .address_space:  global
        .offset:         80
        .size:           8
        .value_kind:     global_buffer
      - .offset:         88
        .size:           4
        .value_kind:     by_value
      - .offset:         92
        .size:           1
        .value_kind:     by_value
    .group_segment_fixed_size: 0
    .kernarg_segment_align: 8
    .kernarg_segment_size: 96
    .language:       OpenCL C
    .language_version:
      - 2
      - 0
    .max_flat_workgroup_size: 256
    .name:           _ZN9rocsparseL23gebsrmvn_general_kernelILj256ELj8E21rocsparse_complex_numIdEEEvi20rocsparse_direction_NS_24const_host_device_scalarIT1_EEPKiS8_PKS5_iiSA_S6_PS5_21rocsparse_index_base_b
    .private_segment_fixed_size: 0
    .sgpr_count:     30
    .sgpr_spill_count: 0
    .symbol:         _ZN9rocsparseL23gebsrmvn_general_kernelILj256ELj8E21rocsparse_complex_numIdEEEvi20rocsparse_direction_NS_24const_host_device_scalarIT1_EEPKiS8_PKS5_iiSA_S6_PS5_21rocsparse_index_base_b.kd
    .uniform_work_group_size: 1
    .uses_dynamic_stack: false
    .vgpr_count:     30
    .vgpr_spill_count: 0
    .wavefront_size: 32
    .workgroup_processor_mode: 1
  - .args:
      - .offset:         0
        .size:           4
        .value_kind:     by_value
      - .offset:         4
        .size:           4
        .value_kind:     by_value
      - .offset:         8
        .size:           16
        .value_kind:     by_value
      - .actual_access:  read_only
        .address_space:  global
        .offset:         24
        .size:           8
        .value_kind:     global_buffer
      - .actual_access:  read_only
        .address_space:  global
        .offset:         32
        .size:           8
        .value_kind:     global_buffer
      - .actual_access:  read_only
        .address_space:  global
        .offset:         40
        .size:           8
        .value_kind:     global_buffer
      - .offset:         48
        .size:           4
        .value_kind:     by_value
      - .offset:         52
        .size:           4
        .value_kind:     by_value
      - .actual_access:  read_only
        .address_space:  global
        .offset:         56
        .size:           8
        .value_kind:     global_buffer
      - .offset:         64
        .size:           16
        .value_kind:     by_value
      - .address_space:  global
        .offset:         80
        .size:           8
        .value_kind:     global_buffer
      - .offset:         88
        .size:           4
        .value_kind:     by_value
      - .offset:         92
        .size:           1
        .value_kind:     by_value
    .group_segment_fixed_size: 0
    .kernarg_segment_align: 8
    .kernarg_segment_size: 96
    .language:       OpenCL C
    .language_version:
      - 2
      - 0
    .max_flat_workgroup_size: 512
    .name:           _ZN9rocsparseL23gebsrmvn_general_kernelILj512ELj16E21rocsparse_complex_numIdEEEvi20rocsparse_direction_NS_24const_host_device_scalarIT1_EEPKiS8_PKS5_iiSA_S6_PS5_21rocsparse_index_base_b
    .private_segment_fixed_size: 0
    .sgpr_count:     30
    .sgpr_spill_count: 0
    .symbol:         _ZN9rocsparseL23gebsrmvn_general_kernelILj512ELj16E21rocsparse_complex_numIdEEEvi20rocsparse_direction_NS_24const_host_device_scalarIT1_EEPKiS8_PKS5_iiSA_S6_PS5_21rocsparse_index_base_b.kd
    .uniform_work_group_size: 1
    .uses_dynamic_stack: false
    .vgpr_count:     31
    .vgpr_spill_count: 0
    .wavefront_size: 32
    .workgroup_processor_mode: 1
  - .args:
      - .offset:         0
        .size:           4
        .value_kind:     by_value
      - .offset:         4
        .size:           4
        .value_kind:     by_value
      - .offset:         8
        .size:           16
        .value_kind:     by_value
      - .actual_access:  read_only
        .address_space:  global
        .offset:         24
        .size:           8
        .value_kind:     global_buffer
      - .actual_access:  read_only
        .address_space:  global
        .offset:         32
        .size:           8
        .value_kind:     global_buffer
      - .actual_access:  read_only
        .address_space:  global
        .offset:         40
        .size:           8
        .value_kind:     global_buffer
      - .offset:         48
        .size:           4
        .value_kind:     by_value
      - .offset:         52
        .size:           4
        .value_kind:     by_value
      - .actual_access:  read_only
        .address_space:  global
        .offset:         56
        .size:           8
        .value_kind:     global_buffer
      - .offset:         64
        .size:           16
        .value_kind:     by_value
      - .address_space:  global
        .offset:         80
        .size:           8
        .value_kind:     global_buffer
      - .offset:         88
        .size:           4
        .value_kind:     by_value
      - .offset:         92
        .size:           1
        .value_kind:     by_value
    .group_segment_fixed_size: 0
    .kernarg_segment_align: 8
    .kernarg_segment_size: 96
    .language:       OpenCL C
    .language_version:
      - 2
      - 0
    .max_flat_workgroup_size: 1024
    .name:           _ZN9rocsparseL23gebsrmvn_general_kernelILj1024ELj32E21rocsparse_complex_numIdEEEvi20rocsparse_direction_NS_24const_host_device_scalarIT1_EEPKiS8_PKS5_iiSA_S6_PS5_21rocsparse_index_base_b
    .private_segment_fixed_size: 0
    .sgpr_count:     30
    .sgpr_spill_count: 0
    .symbol:         _ZN9rocsparseL23gebsrmvn_general_kernelILj1024ELj32E21rocsparse_complex_numIdEEEvi20rocsparse_direction_NS_24const_host_device_scalarIT1_EEPKiS8_PKS5_iiSA_S6_PS5_21rocsparse_index_base_b.kd
    .uniform_work_group_size: 1
    .uses_dynamic_stack: false
    .vgpr_count:     32
    .vgpr_spill_count: 0
    .wavefront_size: 32
    .workgroup_processor_mode: 1
amdhsa.target:   amdgcn-amd-amdhsa--gfx1030
amdhsa.version:
  - 1
  - 2
...

	.end_amdgpu_metadata
